;; amdgpu-corpus repo=ROCm/composable_kernel kind=compiled arch=gfx1030 opt=O3
	.amdgcn_target "amdgcn-amd-amdhsa--gfx1030"
	.amdhsa_code_object_version 6
	.section	.text._ZN2ckL12flush_icacheEv,"axG",@progbits,_ZN2ckL12flush_icacheEv,comdat
	.globl	_ZN2ckL12flush_icacheEv         ; -- Begin function _ZN2ckL12flush_icacheEv
	.p2align	8
	.type	_ZN2ckL12flush_icacheEv,@function
_ZN2ckL12flush_icacheEv:                ; @_ZN2ckL12flush_icacheEv
; %bb.0:
	;;#ASMSTART
	s_icache_inv 
	s_nop 0 
	s_nop 0 
	;; [unrolled: 1-line block ×16, first 2 shown]
	
	;;#ASMEND
	s_endpgm
	.section	.rodata,"a",@progbits
	.p2align	6, 0x0
	.amdhsa_kernel _ZN2ckL12flush_icacheEv
		.amdhsa_group_segment_fixed_size 0
		.amdhsa_private_segment_fixed_size 0
		.amdhsa_kernarg_size 0
		.amdhsa_user_sgpr_count 4
		.amdhsa_user_sgpr_private_segment_buffer 1
		.amdhsa_user_sgpr_dispatch_ptr 0
		.amdhsa_user_sgpr_queue_ptr 0
		.amdhsa_user_sgpr_kernarg_segment_ptr 0
		.amdhsa_user_sgpr_dispatch_id 0
		.amdhsa_user_sgpr_flat_scratch_init 0
		.amdhsa_user_sgpr_private_segment_size 0
		.amdhsa_wavefront_size32 1
		.amdhsa_uses_dynamic_stack 0
		.amdhsa_system_sgpr_private_segment_wavefront_offset 0
		.amdhsa_system_sgpr_workgroup_id_x 1
		.amdhsa_system_sgpr_workgroup_id_y 0
		.amdhsa_system_sgpr_workgroup_id_z 0
		.amdhsa_system_sgpr_workgroup_info 0
		.amdhsa_system_vgpr_workitem_id 0
		.amdhsa_next_free_vgpr 1
		.amdhsa_next_free_sgpr 1
		.amdhsa_reserve_vcc 0
		.amdhsa_reserve_flat_scratch 0
		.amdhsa_float_round_mode_32 0
		.amdhsa_float_round_mode_16_64 0
		.amdhsa_float_denorm_mode_32 3
		.amdhsa_float_denorm_mode_16_64 3
		.amdhsa_dx10_clamp 1
		.amdhsa_ieee_mode 1
		.amdhsa_fp16_overflow 0
		.amdhsa_workgroup_processor_mode 1
		.amdhsa_memory_ordered 1
		.amdhsa_forward_progress 1
		.amdhsa_shared_vgpr_count 0
		.amdhsa_exception_fp_ieee_invalid_op 0
		.amdhsa_exception_fp_denorm_src 0
		.amdhsa_exception_fp_ieee_div_zero 0
		.amdhsa_exception_fp_ieee_overflow 0
		.amdhsa_exception_fp_ieee_underflow 0
		.amdhsa_exception_fp_ieee_inexact 0
		.amdhsa_exception_int_div_zero 0
	.end_amdhsa_kernel
	.section	.text._ZN2ckL12flush_icacheEv,"axG",@progbits,_ZN2ckL12flush_icacheEv,comdat
.Lfunc_end0:
	.size	_ZN2ckL12flush_icacheEv, .Lfunc_end0-_ZN2ckL12flush_icacheEv
                                        ; -- End function
	.set _ZN2ckL12flush_icacheEv.num_vgpr, 0
	.set _ZN2ckL12flush_icacheEv.num_agpr, 0
	.set _ZN2ckL12flush_icacheEv.numbered_sgpr, 0
	.set _ZN2ckL12flush_icacheEv.num_named_barrier, 0
	.set _ZN2ckL12flush_icacheEv.private_seg_size, 0
	.set _ZN2ckL12flush_icacheEv.uses_vcc, 0
	.set _ZN2ckL12flush_icacheEv.uses_flat_scratch, 0
	.set _ZN2ckL12flush_icacheEv.has_dyn_sized_stack, 0
	.set _ZN2ckL12flush_icacheEv.has_recursion, 0
	.set _ZN2ckL12flush_icacheEv.has_indirect_call, 0
	.section	.AMDGPU.csdata,"",@progbits
; Kernel info:
; codeLenInByte = 344
; TotalNumSgprs: 0
; NumVgprs: 0
; ScratchSize: 0
; MemoryBound: 0
; FloatMode: 240
; IeeeMode: 1
; LDSByteSize: 0 bytes/workgroup (compile time only)
; SGPRBlocks: 0
; VGPRBlocks: 0
; NumSGPRsForWavesPerEU: 1
; NumVGPRsForWavesPerEU: 1
; Occupancy: 16
; WaveLimiterHint : 0
; COMPUTE_PGM_RSRC2:SCRATCH_EN: 0
; COMPUTE_PGM_RSRC2:USER_SGPR: 4
; COMPUTE_PGM_RSRC2:TRAP_HANDLER: 0
; COMPUTE_PGM_RSRC2:TGID_X_EN: 1
; COMPUTE_PGM_RSRC2:TGID_Y_EN: 0
; COMPUTE_PGM_RSRC2:TGID_Z_EN: 0
; COMPUTE_PGM_RSRC2:TIDIG_COMP_CNT: 0
	.section	.text._ZN2ck16tensor_operation6device12_GLOBAL__N_137kernel_grouped_conv_fwd_dl_multiple_dINS_32GridwiseGemmDlMultipleD_km_kn_mnILi256EDF16_fNS_5TupleIJDF16_EEEDF16_NS0_12element_wise11PassThroughES8_NS7_7AddReluELNS_25InMemoryDataOperationEnumE0ENS_16TensorDescriptorINS5_IJNS_5EmbedINS5_IJiiiEEESD_Lb0EEENS_11PassThroughIiEENS_3PadIiiiLb0EEESG_SG_NSC_INS5_IJiiEEESJ_Lb0EEESG_NS_23Merge_v2_magic_divisionISJ_EESM_NS_8RightPadIiiLb0EEESO_NS_7UnMergeISJ_Lb0EEESG_EEENS5_IJNS_8SequenceIJLi0EEEENSS_IJLi1EEEENSS_IJLi2EEEENSS_IJLi3EEEENSS_IJLi4EEEENSS_IJLi5EEEENSS_IJLi6EEEENSS_IJLi7ELi9EEEENSS_IJLi8ELi10EEEENSS_IJLi11EEEENSS_IJLi12EEEENSS_IJLi14EEEENSS_IJLi13EEEEEEENS5_IJNSS_IJLi1ELi2ELi3EEEESX_SY_SZ_NSS_IJLi7EEEENSS_IJLi8ELi9EEEENSS_IJLi10EEEES12_S13_S15_S14_NSS_IJLi15ELi16EEEENSS_IJLi17EEEEEEENSS_IJLi15ELi17ELi16EEEElEENSB_INS5_IJSQ_SO_SO_SQ_SG_EEENS5_IJST_SU_SV_SX_SW_EEENS5_IJNSS_IJLi1ELi2EEEESW_SX_NSS_IJLi5ELi6EEEES18_EEENSS_IJLi5ELi7ELi6EEEElEENSB_INS5_IJSK_SO_SO_EEENS5_IJST_SU_SV_EEENS5_IJS1I_SW_SX_EEENSS_IJLi3ELi4EEEElEELi128ELi128ELi16ELi2ELi4ELi4ELi1ENSS_IJLi8ELi2EEEES1S_NSS_IJLi8ELi1ELi1ELi2EEEENSS_IJLi2ELi1ELi128ELi1EEEENSS_IJLi1ELi2ELi0ELi3EEEES1V_NSS_IJLi4ELi1ELi1ELi2EEEES1V_NSS_IJLi1ELi1ELi1ELi2EEEES1T_S1U_S1V_S1V_S1W_S1V_S1X_NSS_IJLi0ELi1ELi2ELi3ELi4ELi5EEEELi5ELi4EEEDF16_NS5_IJPKDF16_EEEDF16_S8_S8_S9_NSB_INS5_IJSE_SG_SI_SG_SG_SK_SG_SM_SM_SO_SO_SQ_SG_SG_NSP_INS5_IJiNS_17integral_constantIiLi128EEEEEELb0EEENSF_INS23_IiLi2EEEEEEEENS5_IJST_SU_SV_SW_SX_SY_SZ_S10_S11_S12_S13_S14_S15_NSS_IJLi15EEEES1C_NSS_IJLi16EEEEEEENS5_IJS17_SX_SY_SZ_S18_S19_S1A_S12_S13_S15_S14_S1B_S1C_NSS_IJLi18EEEENSS_IJLi19ELi20EEEENSS_IJLi21EEEEEEENSS_IJLi18ELi19ELi20ELi21EEEElEENSB_INS5_IJSQ_SO_SO_SQ_SG_SG_S26_S28_EEENS5_IJST_SU_SV_SX_SW_SY_S18_SZ_EEENS5_IJS1I_SW_SX_S1J_S18_NSS_IJLi8EEEENSS_IJLi9ELi10EEEES12_EEENSS_IJLi8ELi9ELi10ELi11EEEElEENS5_IJNSB_INS5_IJSK_SO_SO_NSP_INS5_IJiS27_NS23_IiLi64EEEEEELb0EEES2S_EEENS5_IJST_SU_SV_SW_SX_EEENS5_IJS1I_SW_SX_NSS_IJLi5ELi6ELi7EEEENSS_IJLi8ELi9ELi10EEEEEEENSS_IJLi5ELi6ELi7ELi8ELi9ELi10EEEElEEEEES2Z_NS_31BlockToCTileMap_M00_N00_M01_N01ILi128ELi128ES1R_Lb0EEENS1_30ComputePtrOffsetOfStridedBatchILi1ELi1ELi1EvEELb1ELb1EEEvPKT0_S37_T1_PT2_T3_T4_T5_iT6_T7_T8_T9_T10_T11_,"axG",@progbits,_ZN2ck16tensor_operation6device12_GLOBAL__N_137kernel_grouped_conv_fwd_dl_multiple_dINS_32GridwiseGemmDlMultipleD_km_kn_mnILi256EDF16_fNS_5TupleIJDF16_EEEDF16_NS0_12element_wise11PassThroughES8_NS7_7AddReluELNS_25InMemoryDataOperationEnumE0ENS_16TensorDescriptorINS5_IJNS_5EmbedINS5_IJiiiEEESD_Lb0EEENS_11PassThroughIiEENS_3PadIiiiLb0EEESG_SG_NSC_INS5_IJiiEEESJ_Lb0EEESG_NS_23Merge_v2_magic_divisionISJ_EESM_NS_8RightPadIiiLb0EEESO_NS_7UnMergeISJ_Lb0EEESG_EEENS5_IJNS_8SequenceIJLi0EEEENSS_IJLi1EEEENSS_IJLi2EEEENSS_IJLi3EEEENSS_IJLi4EEEENSS_IJLi5EEEENSS_IJLi6EEEENSS_IJLi7ELi9EEEENSS_IJLi8ELi10EEEENSS_IJLi11EEEENSS_IJLi12EEEENSS_IJLi14EEEENSS_IJLi13EEEEEEENS5_IJNSS_IJLi1ELi2ELi3EEEESX_SY_SZ_NSS_IJLi7EEEENSS_IJLi8ELi9EEEENSS_IJLi10EEEES12_S13_S15_S14_NSS_IJLi15ELi16EEEENSS_IJLi17EEEEEEENSS_IJLi15ELi17ELi16EEEElEENSB_INS5_IJSQ_SO_SO_SQ_SG_EEENS5_IJST_SU_SV_SX_SW_EEENS5_IJNSS_IJLi1ELi2EEEESW_SX_NSS_IJLi5ELi6EEEES18_EEENSS_IJLi5ELi7ELi6EEEElEENSB_INS5_IJSK_SO_SO_EEENS5_IJST_SU_SV_EEENS5_IJS1I_SW_SX_EEENSS_IJLi3ELi4EEEElEELi128ELi128ELi16ELi2ELi4ELi4ELi1ENSS_IJLi8ELi2EEEES1S_NSS_IJLi8ELi1ELi1ELi2EEEENSS_IJLi2ELi1ELi128ELi1EEEENSS_IJLi1ELi2ELi0ELi3EEEES1V_NSS_IJLi4ELi1ELi1ELi2EEEES1V_NSS_IJLi1ELi1ELi1ELi2EEEES1T_S1U_S1V_S1V_S1W_S1V_S1X_NSS_IJLi0ELi1ELi2ELi3ELi4ELi5EEEELi5ELi4EEEDF16_NS5_IJPKDF16_EEEDF16_S8_S8_S9_NSB_INS5_IJSE_SG_SI_SG_SG_SK_SG_SM_SM_SO_SO_SQ_SG_SG_NSP_INS5_IJiNS_17integral_constantIiLi128EEEEEELb0EEENSF_INS23_IiLi2EEEEEEEENS5_IJST_SU_SV_SW_SX_SY_SZ_S10_S11_S12_S13_S14_S15_NSS_IJLi15EEEES1C_NSS_IJLi16EEEEEEENS5_IJS17_SX_SY_SZ_S18_S19_S1A_S12_S13_S15_S14_S1B_S1C_NSS_IJLi18EEEENSS_IJLi19ELi20EEEENSS_IJLi21EEEEEEENSS_IJLi18ELi19ELi20ELi21EEEElEENSB_INS5_IJSQ_SO_SO_SQ_SG_SG_S26_S28_EEENS5_IJST_SU_SV_SX_SW_SY_S18_SZ_EEENS5_IJS1I_SW_SX_S1J_S18_NSS_IJLi8EEEENSS_IJLi9ELi10EEEES12_EEENSS_IJLi8ELi9ELi10ELi11EEEElEENS5_IJNSB_INS5_IJSK_SO_SO_NSP_INS5_IJiS27_NS23_IiLi64EEEEEELb0EEES2S_EEENS5_IJST_SU_SV_SW_SX_EEENS5_IJS1I_SW_SX_NSS_IJLi5ELi6ELi7EEEENSS_IJLi8ELi9ELi10EEEEEEENSS_IJLi5ELi6ELi7ELi8ELi9ELi10EEEElEEEEES2Z_NS_31BlockToCTileMap_M00_N00_M01_N01ILi128ELi128ES1R_Lb0EEENS1_30ComputePtrOffsetOfStridedBatchILi1ELi1ELi1EvEELb1ELb1EEEvPKT0_S37_T1_PT2_T3_T4_T5_iT6_T7_T8_T9_T10_T11_,comdat
	.globl	_ZN2ck16tensor_operation6device12_GLOBAL__N_137kernel_grouped_conv_fwd_dl_multiple_dINS_32GridwiseGemmDlMultipleD_km_kn_mnILi256EDF16_fNS_5TupleIJDF16_EEEDF16_NS0_12element_wise11PassThroughES8_NS7_7AddReluELNS_25InMemoryDataOperationEnumE0ENS_16TensorDescriptorINS5_IJNS_5EmbedINS5_IJiiiEEESD_Lb0EEENS_11PassThroughIiEENS_3PadIiiiLb0EEESG_SG_NSC_INS5_IJiiEEESJ_Lb0EEESG_NS_23Merge_v2_magic_divisionISJ_EESM_NS_8RightPadIiiLb0EEESO_NS_7UnMergeISJ_Lb0EEESG_EEENS5_IJNS_8SequenceIJLi0EEEENSS_IJLi1EEEENSS_IJLi2EEEENSS_IJLi3EEEENSS_IJLi4EEEENSS_IJLi5EEEENSS_IJLi6EEEENSS_IJLi7ELi9EEEENSS_IJLi8ELi10EEEENSS_IJLi11EEEENSS_IJLi12EEEENSS_IJLi14EEEENSS_IJLi13EEEEEEENS5_IJNSS_IJLi1ELi2ELi3EEEESX_SY_SZ_NSS_IJLi7EEEENSS_IJLi8ELi9EEEENSS_IJLi10EEEES12_S13_S15_S14_NSS_IJLi15ELi16EEEENSS_IJLi17EEEEEEENSS_IJLi15ELi17ELi16EEEElEENSB_INS5_IJSQ_SO_SO_SQ_SG_EEENS5_IJST_SU_SV_SX_SW_EEENS5_IJNSS_IJLi1ELi2EEEESW_SX_NSS_IJLi5ELi6EEEES18_EEENSS_IJLi5ELi7ELi6EEEElEENSB_INS5_IJSK_SO_SO_EEENS5_IJST_SU_SV_EEENS5_IJS1I_SW_SX_EEENSS_IJLi3ELi4EEEElEELi128ELi128ELi16ELi2ELi4ELi4ELi1ENSS_IJLi8ELi2EEEES1S_NSS_IJLi8ELi1ELi1ELi2EEEENSS_IJLi2ELi1ELi128ELi1EEEENSS_IJLi1ELi2ELi0ELi3EEEES1V_NSS_IJLi4ELi1ELi1ELi2EEEES1V_NSS_IJLi1ELi1ELi1ELi2EEEES1T_S1U_S1V_S1V_S1W_S1V_S1X_NSS_IJLi0ELi1ELi2ELi3ELi4ELi5EEEELi5ELi4EEEDF16_NS5_IJPKDF16_EEEDF16_S8_S8_S9_NSB_INS5_IJSE_SG_SI_SG_SG_SK_SG_SM_SM_SO_SO_SQ_SG_SG_NSP_INS5_IJiNS_17integral_constantIiLi128EEEEEELb0EEENSF_INS23_IiLi2EEEEEEEENS5_IJST_SU_SV_SW_SX_SY_SZ_S10_S11_S12_S13_S14_S15_NSS_IJLi15EEEES1C_NSS_IJLi16EEEEEEENS5_IJS17_SX_SY_SZ_S18_S19_S1A_S12_S13_S15_S14_S1B_S1C_NSS_IJLi18EEEENSS_IJLi19ELi20EEEENSS_IJLi21EEEEEEENSS_IJLi18ELi19ELi20ELi21EEEElEENSB_INS5_IJSQ_SO_SO_SQ_SG_SG_S26_S28_EEENS5_IJST_SU_SV_SX_SW_SY_S18_SZ_EEENS5_IJS1I_SW_SX_S1J_S18_NSS_IJLi8EEEENSS_IJLi9ELi10EEEES12_EEENSS_IJLi8ELi9ELi10ELi11EEEElEENS5_IJNSB_INS5_IJSK_SO_SO_NSP_INS5_IJiS27_NS23_IiLi64EEEEEELb0EEES2S_EEENS5_IJST_SU_SV_SW_SX_EEENS5_IJS1I_SW_SX_NSS_IJLi5ELi6ELi7EEEENSS_IJLi8ELi9ELi10EEEEEEENSS_IJLi5ELi6ELi7ELi8ELi9ELi10EEEElEEEEES2Z_NS_31BlockToCTileMap_M00_N00_M01_N01ILi128ELi128ES1R_Lb0EEENS1_30ComputePtrOffsetOfStridedBatchILi1ELi1ELi1EvEELb1ELb1EEEvPKT0_S37_T1_PT2_T3_T4_T5_iT6_T7_T8_T9_T10_T11_ ; -- Begin function _ZN2ck16tensor_operation6device12_GLOBAL__N_137kernel_grouped_conv_fwd_dl_multiple_dINS_32GridwiseGemmDlMultipleD_km_kn_mnILi256EDF16_fNS_5TupleIJDF16_EEEDF16_NS0_12element_wise11PassThroughES8_NS7_7AddReluELNS_25InMemoryDataOperationEnumE0ENS_16TensorDescriptorINS5_IJNS_5EmbedINS5_IJiiiEEESD_Lb0EEENS_11PassThroughIiEENS_3PadIiiiLb0EEESG_SG_NSC_INS5_IJiiEEESJ_Lb0EEESG_NS_23Merge_v2_magic_divisionISJ_EESM_NS_8RightPadIiiLb0EEESO_NS_7UnMergeISJ_Lb0EEESG_EEENS5_IJNS_8SequenceIJLi0EEEENSS_IJLi1EEEENSS_IJLi2EEEENSS_IJLi3EEEENSS_IJLi4EEEENSS_IJLi5EEEENSS_IJLi6EEEENSS_IJLi7ELi9EEEENSS_IJLi8ELi10EEEENSS_IJLi11EEEENSS_IJLi12EEEENSS_IJLi14EEEENSS_IJLi13EEEEEEENS5_IJNSS_IJLi1ELi2ELi3EEEESX_SY_SZ_NSS_IJLi7EEEENSS_IJLi8ELi9EEEENSS_IJLi10EEEES12_S13_S15_S14_NSS_IJLi15ELi16EEEENSS_IJLi17EEEEEEENSS_IJLi15ELi17ELi16EEEElEENSB_INS5_IJSQ_SO_SO_SQ_SG_EEENS5_IJST_SU_SV_SX_SW_EEENS5_IJNSS_IJLi1ELi2EEEESW_SX_NSS_IJLi5ELi6EEEES18_EEENSS_IJLi5ELi7ELi6EEEElEENSB_INS5_IJSK_SO_SO_EEENS5_IJST_SU_SV_EEENS5_IJS1I_SW_SX_EEENSS_IJLi3ELi4EEEElEELi128ELi128ELi16ELi2ELi4ELi4ELi1ENSS_IJLi8ELi2EEEES1S_NSS_IJLi8ELi1ELi1ELi2EEEENSS_IJLi2ELi1ELi128ELi1EEEENSS_IJLi1ELi2ELi0ELi3EEEES1V_NSS_IJLi4ELi1ELi1ELi2EEEES1V_NSS_IJLi1ELi1ELi1ELi2EEEES1T_S1U_S1V_S1V_S1W_S1V_S1X_NSS_IJLi0ELi1ELi2ELi3ELi4ELi5EEEELi5ELi4EEEDF16_NS5_IJPKDF16_EEEDF16_S8_S8_S9_NSB_INS5_IJSE_SG_SI_SG_SG_SK_SG_SM_SM_SO_SO_SQ_SG_SG_NSP_INS5_IJiNS_17integral_constantIiLi128EEEEEELb0EEENSF_INS23_IiLi2EEEEEEEENS5_IJST_SU_SV_SW_SX_SY_SZ_S10_S11_S12_S13_S14_S15_NSS_IJLi15EEEES1C_NSS_IJLi16EEEEEEENS5_IJS17_SX_SY_SZ_S18_S19_S1A_S12_S13_S15_S14_S1B_S1C_NSS_IJLi18EEEENSS_IJLi19ELi20EEEENSS_IJLi21EEEEEEENSS_IJLi18ELi19ELi20ELi21EEEElEENSB_INS5_IJSQ_SO_SO_SQ_SG_SG_S26_S28_EEENS5_IJST_SU_SV_SX_SW_SY_S18_SZ_EEENS5_IJS1I_SW_SX_S1J_S18_NSS_IJLi8EEEENSS_IJLi9ELi10EEEES12_EEENSS_IJLi8ELi9ELi10ELi11EEEElEENS5_IJNSB_INS5_IJSK_SO_SO_NSP_INS5_IJiS27_NS23_IiLi64EEEEEELb0EEES2S_EEENS5_IJST_SU_SV_SW_SX_EEENS5_IJS1I_SW_SX_NSS_IJLi5ELi6ELi7EEEENSS_IJLi8ELi9ELi10EEEEEEENSS_IJLi5ELi6ELi7ELi8ELi9ELi10EEEElEEEEES2Z_NS_31BlockToCTileMap_M00_N00_M01_N01ILi128ELi128ES1R_Lb0EEENS1_30ComputePtrOffsetOfStridedBatchILi1ELi1ELi1EvEELb1ELb1EEEvPKT0_S37_T1_PT2_T3_T4_T5_iT6_T7_T8_T9_T10_T11_
	.p2align	8
	.type	_ZN2ck16tensor_operation6device12_GLOBAL__N_137kernel_grouped_conv_fwd_dl_multiple_dINS_32GridwiseGemmDlMultipleD_km_kn_mnILi256EDF16_fNS_5TupleIJDF16_EEEDF16_NS0_12element_wise11PassThroughES8_NS7_7AddReluELNS_25InMemoryDataOperationEnumE0ENS_16TensorDescriptorINS5_IJNS_5EmbedINS5_IJiiiEEESD_Lb0EEENS_11PassThroughIiEENS_3PadIiiiLb0EEESG_SG_NSC_INS5_IJiiEEESJ_Lb0EEESG_NS_23Merge_v2_magic_divisionISJ_EESM_NS_8RightPadIiiLb0EEESO_NS_7UnMergeISJ_Lb0EEESG_EEENS5_IJNS_8SequenceIJLi0EEEENSS_IJLi1EEEENSS_IJLi2EEEENSS_IJLi3EEEENSS_IJLi4EEEENSS_IJLi5EEEENSS_IJLi6EEEENSS_IJLi7ELi9EEEENSS_IJLi8ELi10EEEENSS_IJLi11EEEENSS_IJLi12EEEENSS_IJLi14EEEENSS_IJLi13EEEEEEENS5_IJNSS_IJLi1ELi2ELi3EEEESX_SY_SZ_NSS_IJLi7EEEENSS_IJLi8ELi9EEEENSS_IJLi10EEEES12_S13_S15_S14_NSS_IJLi15ELi16EEEENSS_IJLi17EEEEEEENSS_IJLi15ELi17ELi16EEEElEENSB_INS5_IJSQ_SO_SO_SQ_SG_EEENS5_IJST_SU_SV_SX_SW_EEENS5_IJNSS_IJLi1ELi2EEEESW_SX_NSS_IJLi5ELi6EEEES18_EEENSS_IJLi5ELi7ELi6EEEElEENSB_INS5_IJSK_SO_SO_EEENS5_IJST_SU_SV_EEENS5_IJS1I_SW_SX_EEENSS_IJLi3ELi4EEEElEELi128ELi128ELi16ELi2ELi4ELi4ELi1ENSS_IJLi8ELi2EEEES1S_NSS_IJLi8ELi1ELi1ELi2EEEENSS_IJLi2ELi1ELi128ELi1EEEENSS_IJLi1ELi2ELi0ELi3EEEES1V_NSS_IJLi4ELi1ELi1ELi2EEEES1V_NSS_IJLi1ELi1ELi1ELi2EEEES1T_S1U_S1V_S1V_S1W_S1V_S1X_NSS_IJLi0ELi1ELi2ELi3ELi4ELi5EEEELi5ELi4EEEDF16_NS5_IJPKDF16_EEEDF16_S8_S8_S9_NSB_INS5_IJSE_SG_SI_SG_SG_SK_SG_SM_SM_SO_SO_SQ_SG_SG_NSP_INS5_IJiNS_17integral_constantIiLi128EEEEEELb0EEENSF_INS23_IiLi2EEEEEEEENS5_IJST_SU_SV_SW_SX_SY_SZ_S10_S11_S12_S13_S14_S15_NSS_IJLi15EEEES1C_NSS_IJLi16EEEEEEENS5_IJS17_SX_SY_SZ_S18_S19_S1A_S12_S13_S15_S14_S1B_S1C_NSS_IJLi18EEEENSS_IJLi19ELi20EEEENSS_IJLi21EEEEEEENSS_IJLi18ELi19ELi20ELi21EEEElEENSB_INS5_IJSQ_SO_SO_SQ_SG_SG_S26_S28_EEENS5_IJST_SU_SV_SX_SW_SY_S18_SZ_EEENS5_IJS1I_SW_SX_S1J_S18_NSS_IJLi8EEEENSS_IJLi9ELi10EEEES12_EEENSS_IJLi8ELi9ELi10ELi11EEEElEENS5_IJNSB_INS5_IJSK_SO_SO_NSP_INS5_IJiS27_NS23_IiLi64EEEEEELb0EEES2S_EEENS5_IJST_SU_SV_SW_SX_EEENS5_IJS1I_SW_SX_NSS_IJLi5ELi6ELi7EEEENSS_IJLi8ELi9ELi10EEEEEEENSS_IJLi5ELi6ELi7ELi8ELi9ELi10EEEElEEEEES2Z_NS_31BlockToCTileMap_M00_N00_M01_N01ILi128ELi128ES1R_Lb0EEENS1_30ComputePtrOffsetOfStridedBatchILi1ELi1ELi1EvEELb1ELb1EEEvPKT0_S37_T1_PT2_T3_T4_T5_iT6_T7_T8_T9_T10_T11_,@function
_ZN2ck16tensor_operation6device12_GLOBAL__N_137kernel_grouped_conv_fwd_dl_multiple_dINS_32GridwiseGemmDlMultipleD_km_kn_mnILi256EDF16_fNS_5TupleIJDF16_EEEDF16_NS0_12element_wise11PassThroughES8_NS7_7AddReluELNS_25InMemoryDataOperationEnumE0ENS_16TensorDescriptorINS5_IJNS_5EmbedINS5_IJiiiEEESD_Lb0EEENS_11PassThroughIiEENS_3PadIiiiLb0EEESG_SG_NSC_INS5_IJiiEEESJ_Lb0EEESG_NS_23Merge_v2_magic_divisionISJ_EESM_NS_8RightPadIiiLb0EEESO_NS_7UnMergeISJ_Lb0EEESG_EEENS5_IJNS_8SequenceIJLi0EEEENSS_IJLi1EEEENSS_IJLi2EEEENSS_IJLi3EEEENSS_IJLi4EEEENSS_IJLi5EEEENSS_IJLi6EEEENSS_IJLi7ELi9EEEENSS_IJLi8ELi10EEEENSS_IJLi11EEEENSS_IJLi12EEEENSS_IJLi14EEEENSS_IJLi13EEEEEEENS5_IJNSS_IJLi1ELi2ELi3EEEESX_SY_SZ_NSS_IJLi7EEEENSS_IJLi8ELi9EEEENSS_IJLi10EEEES12_S13_S15_S14_NSS_IJLi15ELi16EEEENSS_IJLi17EEEEEEENSS_IJLi15ELi17ELi16EEEElEENSB_INS5_IJSQ_SO_SO_SQ_SG_EEENS5_IJST_SU_SV_SX_SW_EEENS5_IJNSS_IJLi1ELi2EEEESW_SX_NSS_IJLi5ELi6EEEES18_EEENSS_IJLi5ELi7ELi6EEEElEENSB_INS5_IJSK_SO_SO_EEENS5_IJST_SU_SV_EEENS5_IJS1I_SW_SX_EEENSS_IJLi3ELi4EEEElEELi128ELi128ELi16ELi2ELi4ELi4ELi1ENSS_IJLi8ELi2EEEES1S_NSS_IJLi8ELi1ELi1ELi2EEEENSS_IJLi2ELi1ELi128ELi1EEEENSS_IJLi1ELi2ELi0ELi3EEEES1V_NSS_IJLi4ELi1ELi1ELi2EEEES1V_NSS_IJLi1ELi1ELi1ELi2EEEES1T_S1U_S1V_S1V_S1W_S1V_S1X_NSS_IJLi0ELi1ELi2ELi3ELi4ELi5EEEELi5ELi4EEEDF16_NS5_IJPKDF16_EEEDF16_S8_S8_S9_NSB_INS5_IJSE_SG_SI_SG_SG_SK_SG_SM_SM_SO_SO_SQ_SG_SG_NSP_INS5_IJiNS_17integral_constantIiLi128EEEEEELb0EEENSF_INS23_IiLi2EEEEEEEENS5_IJST_SU_SV_SW_SX_SY_SZ_S10_S11_S12_S13_S14_S15_NSS_IJLi15EEEES1C_NSS_IJLi16EEEEEEENS5_IJS17_SX_SY_SZ_S18_S19_S1A_S12_S13_S15_S14_S1B_S1C_NSS_IJLi18EEEENSS_IJLi19ELi20EEEENSS_IJLi21EEEEEEENSS_IJLi18ELi19ELi20ELi21EEEElEENSB_INS5_IJSQ_SO_SO_SQ_SG_SG_S26_S28_EEENS5_IJST_SU_SV_SX_SW_SY_S18_SZ_EEENS5_IJS1I_SW_SX_S1J_S18_NSS_IJLi8EEEENSS_IJLi9ELi10EEEES12_EEENSS_IJLi8ELi9ELi10ELi11EEEElEENS5_IJNSB_INS5_IJSK_SO_SO_NSP_INS5_IJiS27_NS23_IiLi64EEEEEELb0EEES2S_EEENS5_IJST_SU_SV_SW_SX_EEENS5_IJS1I_SW_SX_NSS_IJLi5ELi6ELi7EEEENSS_IJLi8ELi9ELi10EEEEEEENSS_IJLi5ELi6ELi7ELi8ELi9ELi10EEEElEEEEES2Z_NS_31BlockToCTileMap_M00_N00_M01_N01ILi128ELi128ES1R_Lb0EEENS1_30ComputePtrOffsetOfStridedBatchILi1ELi1ELi1EvEELb1ELb1EEEvPKT0_S37_T1_PT2_T3_T4_T5_iT6_T7_T8_T9_T10_T11_: ; @_ZN2ck16tensor_operation6device12_GLOBAL__N_137kernel_grouped_conv_fwd_dl_multiple_dINS_32GridwiseGemmDlMultipleD_km_kn_mnILi256EDF16_fNS_5TupleIJDF16_EEEDF16_NS0_12element_wise11PassThroughES8_NS7_7AddReluELNS_25InMemoryDataOperationEnumE0ENS_16TensorDescriptorINS5_IJNS_5EmbedINS5_IJiiiEEESD_Lb0EEENS_11PassThroughIiEENS_3PadIiiiLb0EEESG_SG_NSC_INS5_IJiiEEESJ_Lb0EEESG_NS_23Merge_v2_magic_divisionISJ_EESM_NS_8RightPadIiiLb0EEESO_NS_7UnMergeISJ_Lb0EEESG_EEENS5_IJNS_8SequenceIJLi0EEEENSS_IJLi1EEEENSS_IJLi2EEEENSS_IJLi3EEEENSS_IJLi4EEEENSS_IJLi5EEEENSS_IJLi6EEEENSS_IJLi7ELi9EEEENSS_IJLi8ELi10EEEENSS_IJLi11EEEENSS_IJLi12EEEENSS_IJLi14EEEENSS_IJLi13EEEEEEENS5_IJNSS_IJLi1ELi2ELi3EEEESX_SY_SZ_NSS_IJLi7EEEENSS_IJLi8ELi9EEEENSS_IJLi10EEEES12_S13_S15_S14_NSS_IJLi15ELi16EEEENSS_IJLi17EEEEEEENSS_IJLi15ELi17ELi16EEEElEENSB_INS5_IJSQ_SO_SO_SQ_SG_EEENS5_IJST_SU_SV_SX_SW_EEENS5_IJNSS_IJLi1ELi2EEEESW_SX_NSS_IJLi5ELi6EEEES18_EEENSS_IJLi5ELi7ELi6EEEElEENSB_INS5_IJSK_SO_SO_EEENS5_IJST_SU_SV_EEENS5_IJS1I_SW_SX_EEENSS_IJLi3ELi4EEEElEELi128ELi128ELi16ELi2ELi4ELi4ELi1ENSS_IJLi8ELi2EEEES1S_NSS_IJLi8ELi1ELi1ELi2EEEENSS_IJLi2ELi1ELi128ELi1EEEENSS_IJLi1ELi2ELi0ELi3EEEES1V_NSS_IJLi4ELi1ELi1ELi2EEEES1V_NSS_IJLi1ELi1ELi1ELi2EEEES1T_S1U_S1V_S1V_S1W_S1V_S1X_NSS_IJLi0ELi1ELi2ELi3ELi4ELi5EEEELi5ELi4EEEDF16_NS5_IJPKDF16_EEEDF16_S8_S8_S9_NSB_INS5_IJSE_SG_SI_SG_SG_SK_SG_SM_SM_SO_SO_SQ_SG_SG_NSP_INS5_IJiNS_17integral_constantIiLi128EEEEEELb0EEENSF_INS23_IiLi2EEEEEEEENS5_IJST_SU_SV_SW_SX_SY_SZ_S10_S11_S12_S13_S14_S15_NSS_IJLi15EEEES1C_NSS_IJLi16EEEEEEENS5_IJS17_SX_SY_SZ_S18_S19_S1A_S12_S13_S15_S14_S1B_S1C_NSS_IJLi18EEEENSS_IJLi19ELi20EEEENSS_IJLi21EEEEEEENSS_IJLi18ELi19ELi20ELi21EEEElEENSB_INS5_IJSQ_SO_SO_SQ_SG_SG_S26_S28_EEENS5_IJST_SU_SV_SX_SW_SY_S18_SZ_EEENS5_IJS1I_SW_SX_S1J_S18_NSS_IJLi8EEEENSS_IJLi9ELi10EEEES12_EEENSS_IJLi8ELi9ELi10ELi11EEEElEENS5_IJNSB_INS5_IJSK_SO_SO_NSP_INS5_IJiS27_NS23_IiLi64EEEEEELb0EEES2S_EEENS5_IJST_SU_SV_SW_SX_EEENS5_IJS1I_SW_SX_NSS_IJLi5ELi6ELi7EEEENSS_IJLi8ELi9ELi10EEEEEEENSS_IJLi5ELi6ELi7ELi8ELi9ELi10EEEElEEEEES2Z_NS_31BlockToCTileMap_M00_N00_M01_N01ILi128ELi128ES1R_Lb0EEENS1_30ComputePtrOffsetOfStridedBatchILi1ELi1ELi1EvEELb1ELb1EEEvPKT0_S37_T1_PT2_T3_T4_T5_iT6_T7_T8_T9_T10_T11_
; %bb.0:
	s_clause 0x3
	s_load_dword s0, s[4:5], 0x24
	s_load_dword s2, s[4:5], 0x288
	s_load_dwordx4 s[20:23], s[4:5], 0x234
	s_load_dword s47, s[4:5], 0x48
	v_lshrrev_b32_e32 v5, 1, v0
	v_mov_b32_e32 v46, 0
	v_mov_b32_e32 v26, 0
	;; [unrolled: 1-line block ×15, first 2 shown]
	s_waitcnt lgkmcnt(0)
	s_abs_i32 s1, s0
	s_abs_i32 s8, s2
	v_cvt_f32_u32_e32 v1, s1
	s_sub_i32 s7, 0, s1
	s_xor_b32 s0, s2, s0
	v_mov_b32_e32 v57, 0
	s_ashr_i32 s0, s0, 31
	v_rcp_iflag_f32_e32 v1, v1
	v_mov_b32_e32 v58, 0
	v_mov_b32_e32 v18, 0
	;; [unrolled: 1-line block ×9, first 2 shown]
	v_mul_f32_e32 v1, 0x4f7ffffe, v1
	v_mov_b32_e32 v35, 0
	v_mov_b32_e32 v34, 0
	;; [unrolled: 1-line block ×4, first 2 shown]
	v_cvt_u32_f32_e32 v1, v1
	v_mov_b32_e32 v32, 0
	v_mov_b32_e32 v33, 0
	;; [unrolled: 1-line block ×4, first 2 shown]
	v_readfirstlane_b32 s3, v1
	v_mov_b32_e32 v37, 0
	v_mov_b32_e32 v36, 0
	v_mov_b32_e32 v68, 0
	v_mov_b32_e32 v69, 0
	s_mul_i32 s7, s7, s3
	v_mov_b32_e32 v38, 0
	s_mul_hi_u32 s7, s3, s7
	v_mov_b32_e32 v39, 0
	s_add_i32 s3, s3, s7
	v_mov_b32_e32 v70, 0
	s_mul_hi_u32 s3, s8, s3
	v_mov_b32_e32 v71, 0
	s_mul_i32 s2, s3, s1
	s_add_i32 s7, s3, 1
	s_sub_i32 s2, s8, s2
	v_mov_b32_e32 v43, 0
	s_sub_i32 s8, s2, s1
	s_cmp_ge_u32 s2, s1
	v_mov_b32_e32 v42, 0
	s_cselect_b32 s3, s7, s3
	s_cselect_b32 s2, s8, s2
	s_add_i32 s7, s3, 1
	s_cmp_ge_u32 s2, s1
	s_load_dwordx8 s[8:15], s[4:5], 0x260
	s_cselect_b32 s1, s7, s3
	s_abs_i32 s7, s6
	s_xor_b32 s1, s1, s0
	v_mov_b32_e32 v72, 0
	s_sub_i32 s0, s1, s0
	v_mov_b32_e32 v73, 0
	s_abs_i32 s1, s0
	s_xor_b32 s0, s6, s0
	v_cvt_f32_u32_e32 v1, s1
	s_sub_i32 s3, 0, s1
	s_ashr_i32 s16, s0, 31
	v_mov_b32_e32 v40, 0
	v_mov_b32_e32 v41, 0
	v_rcp_iflag_f32_e32 v1, v1
	v_mov_b32_e32 v74, 0
	v_mov_b32_e32 v75, 0
	;; [unrolled: 1-line block ×9, first 2 shown]
	v_mul_f32_e32 v1, 0x4f7ffffe, v1
	v_mov_b32_e32 v79, 0
	v_mov_b32_e32 v59, 0
	;; [unrolled: 1-line block ×4, first 2 shown]
	v_cvt_u32_f32_e32 v1, v1
	v_mov_b32_e32 v55, 0
	v_mov_b32_e32 v53, 0
	;; [unrolled: 1-line block ×4, first 2 shown]
	v_readfirstlane_b32 s2, v1
	v_lshlrev_b32_e32 v1, 3, v0
	s_mov_b32 s56, 0
	s_mul_i32 s3, s3, s2
	v_and_b32_e32 v4, 8, v1
	s_mul_hi_u32 s3, s2, s3
	s_add_i32 s2, s2, s3
	s_mul_hi_u32 s2, s7, s2
	s_mul_i32 s3, s2, s1
	s_sub_i32 s0, s7, s3
	s_add_i32 s3, s2, 1
	s_sub_i32 s7, s0, s1
	s_cmp_ge_u32 s0, s1
	s_cselect_b32 s2, s3, s2
	s_cselect_b32 s0, s7, s0
	s_add_i32 s3, s2, 1
	s_cmp_ge_u32 s0, s1
	s_cselect_b32 s7, s3, s2
	s_clause 0x1
	s_load_dwordx4 s[0:3], s[4:5], 0x0
	s_load_dwordx2 s[42:43], s[4:5], 0x18
	s_xor_b32 s7, s7, s16
	s_sub_i32 s49, s7, s16
	s_load_dwordx4 s[16:19], s[4:5], 0x248
	s_ashr_i32 s50, s49, 31
	s_waitcnt lgkmcnt(0)
	s_mul_hi_u32 s7, s8, s49
	s_mul_i32 s27, s11, s49
	s_mul_i32 s11, s8, s50
	;; [unrolled: 1-line block ×3, first 2 shown]
	s_add_i32 s7, s7, s11
	s_mul_i32 s24, s8, s49
	s_mul_hi_u32 s26, s10, s49
	s_mul_i32 s8, s10, s49
	s_mul_i32 s10, s10, s50
	s_add_i32 s25, s7, s9
	s_add_i32 s7, s26, s10
	s_lshl_b64 s[10:11], s[24:25], 1
	s_add_i32 s9, s7, s27
	s_add_u32 s24, s0, s10
	s_addc_u32 s25, s1, s11
	s_lshl_b64 s[0:1], s[8:9], 1
	s_mul_hi_u32 s7, s23, s6
	s_add_u32 s28, s2, s0
	s_addc_u32 s9, s3, s1
	s_add_i32 s0, s6, s7
	s_load_dword s7, s[4:5], 0xc4
	s_lshr_b32 s8, s0, s19
	s_mov_b32 s27, 0x31014000
	s_mul_hi_u32 s0, s8, s22
	s_and_b32 s25, s25, 0xffff
	s_add_i32 s0, s8, s0
	s_lshr_b32 s10, s0, s18
	s_clause 0x2
	s_load_dword s11, s[4:5], 0x204
	s_load_dword s26, s[4:5], 0x214
	s_load_dwordx4 s[0:3], s[4:5], 0x220
	s_mul_hi_u32 s18, s10, s21
	s_clause 0x3
	s_load_dword s19, s[4:5], 0x78
	s_load_dword s53, s[4:5], 0x94
	;; [unrolled: 1-line block ×4, first 2 shown]
	s_add_i32 s18, s10, s18
	s_clause 0x4
	s_load_dword s30, s[4:5], 0xd0
	s_load_dword s34, s[4:5], 0xe8
	;; [unrolled: 1-line block ×5, first 2 shown]
	s_lshr_b32 s31, s18, s17
	s_mul_hi_u32 s17, s31, s20
	s_add_i32 s17, s31, s17
	s_lshr_b32 s16, s17, s16
	s_waitcnt lgkmcnt(0)
	s_mul_i32 s16, s16, s0
	s_mul_i32 s0, s10, s2
	s_sub_i32 s2, s31, s16
	s_sub_i32 s46, s8, s0
	s_mul_i32 s2, s2, s11
	s_load_dword s0, s[4:5], 0x120
	v_mul_lo_u32 v13, s7, v4
	s_add_i32 s46, s46, s2
	s_clause 0x2
	s_load_dword s51, s[4:5], 0x8c
	s_load_dwordx2 s[44:45], s[4:5], 0x60
	s_load_dword s2, s[4:5], 0x70
	v_lshl_or_b32 v111, s46, 7, v5
	s_lshl_b32 s54, s7, 2
	s_mul_i32 s31, s31, s1
	s_mul_i32 s8, s8, s3
	s_sub_i32 s1, s10, s31
	v_mul_hi_u32 v1, v13, s53
	v_mul_hi_u32 v3, v111, s19
	v_add_nc_u32_e32 v2, s54, v13
	s_load_dwordx8 s[16:23], s[4:5], 0x34
	s_waitcnt lgkmcnt(0)
	s_sub_i32 s19, s6, s8
	s_mul_i32 s1, s1, s26
	s_clause 0x3
	s_load_dword s23, s[4:5], 0x148
	s_load_dwordx2 s[38:39], s[4:5], 0x158
	s_load_dword s21, s[4:5], 0x164
	s_load_dword s33, s[4:5], 0x170
	s_add_i32 s19, s19, s1
	v_add_nc_u32_e32 v1, v13, v1
	v_add_nc_u32_e32 v3, v111, v3
	v_lshl_or_b32 v112, s19, 7, v5
	v_mul_lo_u32 v90, s0, v4
	s_mov_b32 s11, s27
	v_lshrrev_b32_e32 v6, s52, v1
	v_mul_hi_u32 v1, v2, s53
	v_lshrrev_b32_e32 v7, s29, v3
	s_and_b32 s29, s9, 0xffff
	s_mov_b32 s8, s28
	v_mul_lo_u32 v3, v6, s44
	v_mul_lo_u32 v8, v6, s51
	;; [unrolled: 1-line block ×3, first 2 shown]
	s_mov_b32 s9, s29
	v_add_nc_u32_e32 v1, v2, v1
	v_mul_lo_u32 v7, v7, s16
	s_waitcnt lgkmcnt(0)
	s_lshl_b32 s10, s23, 1
	s_lshl_b32 s26, s34, 1
	v_lshlrev_b32_e32 v5, 2, v5
	v_lshrrev_b32_e32 v1, s52, v1
	v_sub_nc_u32_e32 v9, v111, v9
	v_sub_nc_u32_e32 v8, v13, v8
	s_sub_i32 s20, s20, s22
	v_lshl_or_b32 v84, v4, 9, v5
	v_mul_lo_u32 v10, v1, s51
	v_mad_u64_u32 v[91:92], null, v9, s45, v[3:4]
	v_sub_nc_u32_e32 v6, v1, v6
	v_mul_lo_u32 v3, v112, s35
	v_mul_lo_u32 v9, v8, s18
	s_lshl_b32 s45, s0, 2
	s_mul_i32 s55, s7, 12
	v_sub_nc_u32_e32 v94, v2, v10
	v_subrev_nc_u32_e32 v10, s47, v91
	v_mul_lo_u32 v92, v6, s44
	s_lshl_b32 s59, s7, 5
	v_add_nc_u32_e32 v6, v3, v90
	v_sub_nc_u32_e32 v8, v94, v8
	v_mul_lo_u32 v10, v10, s17
	v_cmp_gt_i32_e64 s2, s48, v90
	s_lshl_b32 s57, s0, 5
	v_lshlrev_b32_e32 v11, 1, v6
	v_mul_lo_u32 v12, v92, s17
	v_mul_lo_u32 v8, v8, s18
	v_add_lshl_u32 v6, v6, s45, 1
	v_add_nc_u32_e32 v92, v91, v92
	v_add3_u32 v7, v7, v9, v10
	buffer_load_dwordx4 v[95:98], v11, s[8:11], 0 offen
	v_or_b32_e32 v10, 20, v4
	buffer_load_dwordx4 v[99:102], v6, s[8:11], 0 offen
	v_or_b32_e32 v11, 32, v4
	v_add3_u32 v93, v8, v12, v7
	v_lshlrev_b32_e32 v6, 1, v7
	v_or_b32_e32 v12, 36, v4
	v_or_b32_e32 v4, 16, v4
	s_lshl_b32 s58, s0, 6
	v_lshlrev_b32_e32 v7, 1, v93
	s_clause 0x1
	buffer_load_dwordx4 v[103:106], v6, s[24:27], 0 offen
	buffer_load_dwordx4 v[107:110], v7, s[24:27], 0 offen
	s_clause 0x2
	s_load_dwordx2 s[36:37], s[4:5], 0x1e8
	s_load_dword s8, s[4:5], 0xa8
	s_load_dword s16, s[4:5], 0xb4
	v_lshrrev_b32_e32 v6, 5, v0
	v_lshlrev_b32_e32 v7, 1, v0
	v_lshlrev_b32_e32 v0, 2, v0
	s_clause 0x3
	s_load_dwordx2 s[40:41], s[4:5], 0x198
	s_load_dwordx2 s[34:35], s[4:5], 0x1a8
	s_load_dword s11, s[4:5], 0x1b4
	s_load_dword s23, s[4:5], 0x1c0
	v_mul_lo_u32 v5, s0, v12
	v_lshlrev_b32_e32 v8, 6, v6
	v_and_b32_e32 v9, 0x1f8, v7
	v_lshlrev_b32_e32 v6, 3, v6
	v_mul_lo_u32 v12, s7, v12
	s_waitcnt lgkmcnt(0)
	s_mul_i32 s41, s0, 12
	v_cmp_le_i32_e64 s9, s47, v91
	v_sub_nc_u32_e32 v8, v9, v8
	v_and_or_b32 v83, v7, 4, v6
	v_mul_lo_u32 v6, s0, v11
	v_mul_lo_u32 v7, s0, v10
	;; [unrolled: 1-line block ×3, first 2 shown]
	v_and_or_b32 v82, v0, 4, v8
	v_mul_lo_u32 v8, s0, v4
	v_mul_lo_u32 v10, s7, v10
	;; [unrolled: 1-line block ×3, first 2 shown]
	v_cmp_gt_i32_e64 s1, s16, v13
	v_add_nc_u32_e32 v4, s45, v90
	v_cmp_gt_i32_e64 s7, s20, v91
	v_cmp_gt_i32_e64 s0, s61, v112
	v_cmp_gt_i32_e64 s3, s16, v2
	v_cmp_gt_i32_e32 vcc_lo, s8, v111
	v_cmp_gt_i32_e64 s6, s48, v4
	v_cmp_gt_i32_e64 s8, s20, v92
	s_and_b32 s1, s7, s1
	s_sub_i32 s22, s30, 32
	s_mov_b32 s30, s10
	v_cmp_le_i32_e64 s10, s47, v92
	s_and_b32 s7, s1, s9
	s_and_b32 s1, s2, s0
	;; [unrolled: 1-line block ×3, first 2 shown]
	v_lshlrev_b32_e32 v80, 2, v83
	s_and_b32 s3, s3, s10
	v_lshlrev_b32_e32 v81, 2, v82
	v_lshlrev_b32_e32 v13, 1, v5
	;; [unrolled: 1-line block ×5, first 2 shown]
	v_mov_b32_e32 v86, v12
	v_mov_b32_e32 v87, v11
	;; [unrolled: 1-line block ×5, first 2 shown]
	v_lshlrev_b32_e32 v91, 1, v3
	s_mov_b32 s37, 0
	s_mov_b32 s31, s27
	s_sub_i32 s60, 0, s51
	s_waitcnt vmcnt(3)
	v_cndmask_b32_e64 v96, 0, v96, s1
	v_cndmask_b32_e64 v95, 0, v95, s1
	;; [unrolled: 1-line block ×4, first 2 shown]
	s_and_b32 s1, s6, s0
	ds_write2st64_b32 v84, v95, v96 offset0:64 offset1:66
	ds_write2st64_b32 v84, v97, v0 offset0:68 offset1:70
	s_waitcnt vmcnt(2)
	v_cndmask_b32_e64 v98, 0, v102, s1
	v_cndmask_b32_e64 v101, 0, v101, s1
	;; [unrolled: 1-line block ×4, first 2 shown]
	s_and_b32 s1, vcc_lo, s7
	s_waitcnt vmcnt(1)
	v_cndmask_b32_e64 v0, 0, v106, s1
	v_cndmask_b32_e64 v95, 0, v105, s1
	;; [unrolled: 1-line block ×4, first 2 shown]
	s_and_b32 s1, vcc_lo, s3
	s_waitcnt vmcnt(0)
	v_cndmask_b32_e64 v103, 0, v108, s1
	v_cndmask_b32_e64 v104, 0, v107, s1
	;; [unrolled: 1-line block ×4, first 2 shown]
	ds_write2st64_b32 v84, v99, v100 offset0:72 offset1:74
	ds_write2st64_b32 v84, v97, v96 offset1:2
	ds_write2st64_b32 v84, v95, v0 offset0:4 offset1:6
	ds_write2st64_b32 v84, v104, v103 offset0:8 offset1:10
	;; [unrolled: 1-line block ×4, first 2 shown]
.LBB1_1:                                ; =>This Inner Loop Header: Depth=1
	v_mul_hi_u32 v0, s53, v89
	v_add_nc_u32_e32 v97, s37, v9
	v_mul_hi_u32 v103, s53, v88
	v_mul_hi_u32 v96, s53, v87
	;; [unrolled: 1-line block ×3, first 2 shown]
	v_add_nc_u32_e32 v89, s59, v89
	v_cmp_gt_i32_e64 s1, s16, v97
	v_add_nc_u32_e32 v88, s59, v88
	v_add_nc_u32_e32 v0, v97, v0
	;; [unrolled: 1-line block ×4, first 2 shown]
	s_add_i32 s56, s56, 32
	v_lshrrev_b32_e32 v104, s52, v0
	v_mul_lo_u32 v0, s60, v104
	v_sub_nc_u32_e32 v1, v104, v1
	v_mul_lo_u32 v1, v1, s44
	v_add_nc_u32_e32 v105, v97, v0
	v_sub_nc_u32_e32 v0, v0, v94
	v_add_nc_u32_e32 v0, v97, v0
	v_add_nc_u32_e32 v106, v1, v92
	v_mul_lo_u32 v1, v1, s17
	v_mul_lo_u32 v0, v0, s18
	v_cmp_gt_i32_e64 s3, s20, v106
	v_cmp_le_i32_e64 s2, s47, v106
	s_and_b32 s1, s3, s1
	v_add3_u32 v93, v1, v93, v0
	s_and_b32 s1, s1, s2
	s_and_b32 s1, vcc_lo, s1
	v_lshlrev_b32_e32 v0, 1, v93
	buffer_load_dwordx4 v[99:102], v0, s[24:27], 0 offen
	s_waitcnt vmcnt(0)
	v_cndmask_b32_e64 v98, 0, v100, s1
	v_add_nc_u32_e32 v100, s37, v10
	v_cndmask_b32_e64 v94, 0, v102, s1
	v_cndmask_b32_e64 v97, 0, v101, s1
	;; [unrolled: 1-line block ×3, first 2 shown]
	v_add_nc_u32_e32 v0, v100, v103
	v_cmp_gt_i32_e64 s1, s16, v100
	v_lshrrev_b32_e32 v92, s52, v0
	v_mad_u64_u32 v[0:1], null, s60, v92, v[100:101]
	v_sub_nc_u32_e32 v1, v92, v104
	v_mul_lo_u32 v102, v1, s44
	v_sub_nc_u32_e32 v101, v0, v105
	v_mul_lo_u32 v101, v101, s18
	v_add_nc_u32_e32 v1, v102, v106
	v_mul_lo_u32 v102, v102, s17
	v_cmp_gt_i32_e64 s3, s20, v1
	v_cmp_le_i32_e64 s2, s47, v1
	v_add3_u32 v93, v93, v102, v101
	s_and_b32 s1, s3, s1
	s_and_b32 s1, s1, s2
	v_lshlrev_b32_e32 v101, 1, v93
	s_and_b32 s1, vcc_lo, s1
	buffer_load_dwordx4 v[103:106], v101, s[24:27], 0 offen
	s_waitcnt vmcnt(0)
	v_cndmask_b32_e64 v102, 0, v104, s1
	v_add_nc_u32_e32 v104, v85, v91
	v_cndmask_b32_e64 v100, 0, v106, s1
	v_cndmask_b32_e64 v101, 0, v105, s1
	;; [unrolled: 1-line block ×3, first 2 shown]
	v_cmp_gt_i32_e64 s1, s48, v8
	buffer_load_dwordx4 v[107:110], v104, s[28:31], 0 offen
	v_add_nc_u32_e32 v8, s57, v8
	s_and_b32 s1, s0, s1
	s_waitcnt vmcnt(0)
	v_cndmask_b32_e64 v106, 0, v108, s1
	v_add_nc_u32_e32 v108, v15, v91
	v_cndmask_b32_e64 v104, 0, v110, s1
	v_cndmask_b32_e64 v105, 0, v109, s1
	;; [unrolled: 1-line block ×3, first 2 shown]
	v_cmp_gt_i32_e64 s1, s48, v7
	buffer_load_dwordx4 v[111:114], v108, s[28:31], 0 offen
	s_waitcnt lgkmcnt(0)
	s_barrier
	v_add_nc_u32_e32 v7, s57, v7
	s_and_b32 s1, s0, s1
	s_waitcnt vmcnt(0)
	v_cndmask_b32_e64 v108, 0, v114, s1
	v_cndmask_b32_e64 v109, 0, v113, s1
	;; [unrolled: 1-line block ×3, first 2 shown]
	ds_read_b128 v[112:115], v80
	ds_read_b128 v[116:119], v81 offset:16384
	ds_read_b128 v[120:123], v81 offset:16640
	;; [unrolled: 1-line block ×3, first 2 shown]
	v_cndmask_b32_e64 v111, 0, v111, s1
	s_waitcnt lgkmcnt(2)
	v_dot2c_f32_f16 v79, v112, v116
	v_dot2c_f32_f16 v78, v112, v117
	;; [unrolled: 1-line block ×16, first 2 shown]
	s_waitcnt lgkmcnt(1)
	v_dot2c_f32_f16 v77, v112, v120
	v_dot2c_f32_f16 v76, v112, v121
	;; [unrolled: 1-line block ×16, first 2 shown]
	ds_read_b128 v[112:115], v80 offset:512
	s_waitcnt lgkmcnt(1)
	v_dot2c_f32_f16 v63, v124, v116
	v_dot2c_f32_f16 v62, v124, v117
	v_dot2c_f32_f16 v17, v124, v118
	v_dot2c_f32_f16 v16, v124, v119
	v_dot2c_f32_f16 v58, v125, v116
	v_dot2c_f32_f16 v57, v125, v117
	v_dot2c_f32_f16 v23, v125, v118
	v_dot2c_f32_f16 v22, v125, v119
	v_dot2c_f32_f16 v50, v126, v116
	v_dot2c_f32_f16 v49, v126, v117
	v_dot2c_f32_f16 v25, v126, v118
	v_dot2c_f32_f16 v24, v126, v119
	v_dot2c_f32_f16 v46, v127, v116
	v_dot2c_f32_f16 v59, v127, v117
	v_dot2c_f32_f16 v30, v127, v118
	v_dot2c_f32_f16 v31, v127, v119
	ds_read_b128 v[116:119], v81 offset:16896
	v_dot2c_f32_f16 v61, v124, v120
	v_dot2c_f32_f16 v60, v124, v121
	;; [unrolled: 1-line block ×16, first 2 shown]
	ds_read_b128 v[120:123], v81 offset:17152
	ds_read_b128 v[124:127], v80 offset:768
	s_waitcnt lgkmcnt(2)
	v_dot2c_f32_f16 v79, v112, v116
	v_dot2c_f32_f16 v78, v112, v117
	;; [unrolled: 1-line block ×16, first 2 shown]
	s_waitcnt lgkmcnt(1)
	v_dot2c_f32_f16 v77, v112, v120
	v_dot2c_f32_f16 v76, v112, v121
	v_dot2c_f32_f16 v45, v112, v122
	v_dot2c_f32_f16 v44, v112, v123
	v_dot2c_f32_f16 v73, v113, v120
	v_dot2c_f32_f16 v72, v113, v121
	v_dot2c_f32_f16 v42, v113, v122
	v_dot2c_f32_f16 v43, v113, v123
	v_dot2c_f32_f16 v69, v114, v120
	v_dot2c_f32_f16 v68, v114, v121
	v_dot2c_f32_f16 v36, v114, v122
	v_dot2c_f32_f16 v37, v114, v123
	v_dot2c_f32_f16 v65, v115, v120
	v_dot2c_f32_f16 v64, v115, v121
	v_dot2c_f32_f16 v34, v115, v122
	v_dot2c_f32_f16 v35, v115, v123
	ds_read_b128 v[112:115], v80 offset:1024
	s_waitcnt lgkmcnt(1)
	v_dot2c_f32_f16 v63, v124, v116
	v_dot2c_f32_f16 v62, v124, v117
	;; [unrolled: 1-line block ×16, first 2 shown]
	ds_read_b128 v[116:119], v81 offset:17408
	v_dot2c_f32_f16 v61, v124, v120
	v_dot2c_f32_f16 v60, v124, v121
	;; [unrolled: 1-line block ×16, first 2 shown]
	ds_read_b128 v[120:123], v81 offset:17664
	ds_read_b128 v[124:127], v80 offset:1280
	s_waitcnt lgkmcnt(2)
	v_dot2c_f32_f16 v79, v112, v116
	v_dot2c_f32_f16 v78, v112, v117
	;; [unrolled: 1-line block ×16, first 2 shown]
	s_waitcnt lgkmcnt(1)
	v_dot2c_f32_f16 v77, v112, v120
	v_dot2c_f32_f16 v76, v112, v121
	;; [unrolled: 1-line block ×16, first 2 shown]
	ds_read_b128 v[112:115], v80 offset:1536
	s_waitcnt lgkmcnt(1)
	v_dot2c_f32_f16 v63, v124, v116
	v_dot2c_f32_f16 v62, v124, v117
	;; [unrolled: 1-line block ×16, first 2 shown]
	ds_read_b128 v[116:119], v81 offset:17920
	v_dot2c_f32_f16 v61, v124, v120
	v_dot2c_f32_f16 v60, v124, v121
	;; [unrolled: 1-line block ×16, first 2 shown]
	ds_read_b128 v[120:123], v81 offset:18176
	ds_read_b128 v[124:127], v80 offset:1792
	s_waitcnt lgkmcnt(2)
	v_dot2c_f32_f16 v79, v112, v116
	v_dot2c_f32_f16 v78, v112, v117
	;; [unrolled: 1-line block ×16, first 2 shown]
	s_waitcnt lgkmcnt(1)
	v_dot2c_f32_f16 v77, v112, v120
	v_dot2c_f32_f16 v76, v112, v121
	;; [unrolled: 1-line block ×16, first 2 shown]
	ds_read_b128 v[112:115], v80 offset:2048
	s_waitcnt lgkmcnt(1)
	v_dot2c_f32_f16 v63, v124, v116
	v_dot2c_f32_f16 v62, v124, v117
	;; [unrolled: 1-line block ×16, first 2 shown]
	ds_read_b128 v[116:119], v81 offset:18432
	v_dot2c_f32_f16 v61, v124, v120
	v_dot2c_f32_f16 v60, v124, v121
	;; [unrolled: 1-line block ×16, first 2 shown]
	ds_read_b128 v[120:123], v81 offset:18688
	ds_read_b128 v[124:127], v80 offset:2304
	s_waitcnt lgkmcnt(2)
	v_dot2c_f32_f16 v79, v112, v116
	v_dot2c_f32_f16 v78, v112, v117
	;; [unrolled: 1-line block ×16, first 2 shown]
	s_waitcnt lgkmcnt(1)
	v_dot2c_f32_f16 v77, v112, v120
	v_dot2c_f32_f16 v76, v112, v121
	;; [unrolled: 1-line block ×16, first 2 shown]
	ds_read_b128 v[112:115], v80 offset:2560
	s_waitcnt lgkmcnt(1)
	v_dot2c_f32_f16 v63, v124, v116
	v_dot2c_f32_f16 v62, v124, v117
	;; [unrolled: 1-line block ×16, first 2 shown]
	ds_read_b128 v[116:119], v81 offset:18944
	v_dot2c_f32_f16 v61, v124, v120
	v_dot2c_f32_f16 v60, v124, v121
	;; [unrolled: 1-line block ×16, first 2 shown]
	ds_read_b128 v[120:123], v81 offset:19200
	ds_read_b128 v[124:127], v80 offset:2816
	s_waitcnt lgkmcnt(2)
	v_dot2c_f32_f16 v79, v112, v116
	v_dot2c_f32_f16 v78, v112, v117
	;; [unrolled: 1-line block ×16, first 2 shown]
	s_waitcnt lgkmcnt(1)
	v_dot2c_f32_f16 v77, v112, v120
	v_dot2c_f32_f16 v76, v112, v121
	;; [unrolled: 1-line block ×16, first 2 shown]
	ds_read_b128 v[112:115], v80 offset:3072
	s_waitcnt lgkmcnt(1)
	v_dot2c_f32_f16 v63, v124, v116
	v_dot2c_f32_f16 v62, v124, v117
	;; [unrolled: 1-line block ×16, first 2 shown]
	ds_read_b128 v[116:119], v81 offset:19456
	v_dot2c_f32_f16 v61, v124, v120
	v_dot2c_f32_f16 v60, v124, v121
	;; [unrolled: 1-line block ×16, first 2 shown]
	ds_read_b128 v[120:123], v81 offset:19712
	ds_read_b128 v[124:127], v80 offset:3328
	s_waitcnt lgkmcnt(2)
	v_dot2c_f32_f16 v79, v112, v116
	v_dot2c_f32_f16 v78, v112, v117
	;; [unrolled: 1-line block ×16, first 2 shown]
	s_waitcnt lgkmcnt(1)
	v_dot2c_f32_f16 v77, v112, v120
	v_dot2c_f32_f16 v76, v112, v121
	;; [unrolled: 1-line block ×16, first 2 shown]
	ds_read_b128 v[112:115], v80 offset:3584
	s_waitcnt lgkmcnt(1)
	v_dot2c_f32_f16 v63, v124, v116
	v_dot2c_f32_f16 v62, v124, v117
	;; [unrolled: 1-line block ×16, first 2 shown]
	ds_read_b128 v[116:119], v81 offset:19968
	v_dot2c_f32_f16 v61, v124, v120
	v_dot2c_f32_f16 v60, v124, v121
	;; [unrolled: 1-line block ×16, first 2 shown]
	ds_read_b128 v[120:123], v81 offset:20224
	ds_read_b128 v[124:127], v80 offset:3840
	s_waitcnt lgkmcnt(2)
	v_dot2c_f32_f16 v79, v112, v116
	v_dot2c_f32_f16 v78, v112, v117
	;; [unrolled: 1-line block ×16, first 2 shown]
	s_waitcnt lgkmcnt(1)
	v_dot2c_f32_f16 v77, v112, v120
	v_dot2c_f32_f16 v76, v112, v121
	;; [unrolled: 1-line block ×16, first 2 shown]
	ds_read_b128 v[112:115], v80 offset:4096
	s_waitcnt lgkmcnt(1)
	v_dot2c_f32_f16 v63, v124, v116
	v_dot2c_f32_f16 v62, v124, v117
	;; [unrolled: 1-line block ×16, first 2 shown]
	ds_read_b128 v[116:119], v81 offset:20480
	v_dot2c_f32_f16 v61, v124, v120
	v_dot2c_f32_f16 v60, v124, v121
	v_dot2c_f32_f16 v19, v124, v122
	v_dot2c_f32_f16 v18, v124, v123
	v_dot2c_f32_f16 v56, v125, v120
	v_dot2c_f32_f16 v54, v125, v121
	v_dot2c_f32_f16 v21, v125, v122
	v_dot2c_f32_f16 v20, v125, v123
	v_dot2c_f32_f16 v48, v126, v120
	v_dot2c_f32_f16 v47, v126, v121
	v_dot2c_f32_f16 v27, v126, v122
	v_dot2c_f32_f16 v26, v126, v123
	v_dot2c_f32_f16 v55, v127, v120
	v_dot2c_f32_f16 v53, v127, v121
	v_dot2c_f32_f16 v28, v127, v122
	v_dot2c_f32_f16 v29, v127, v123
	ds_read_b128 v[120:123], v81 offset:20736
	ds_read_b128 v[124:127], v80 offset:4352
	s_waitcnt lgkmcnt(2)
	v_dot2c_f32_f16 v79, v112, v116
	v_dot2c_f32_f16 v78, v112, v117
	;; [unrolled: 1-line block ×16, first 2 shown]
	s_waitcnt lgkmcnt(1)
	v_dot2c_f32_f16 v77, v112, v120
	v_dot2c_f32_f16 v76, v112, v121
	;; [unrolled: 1-line block ×16, first 2 shown]
	ds_read_b128 v[112:115], v80 offset:4608
	s_waitcnt lgkmcnt(1)
	v_dot2c_f32_f16 v63, v124, v116
	v_dot2c_f32_f16 v62, v124, v117
	;; [unrolled: 1-line block ×16, first 2 shown]
	ds_read_b128 v[116:119], v81 offset:20992
	v_dot2c_f32_f16 v61, v124, v120
	v_dot2c_f32_f16 v60, v124, v121
	;; [unrolled: 1-line block ×16, first 2 shown]
	ds_read_b128 v[120:123], v81 offset:21248
	ds_read_b128 v[124:127], v80 offset:4864
	s_waitcnt lgkmcnt(2)
	v_dot2c_f32_f16 v79, v112, v116
	v_dot2c_f32_f16 v78, v112, v117
	;; [unrolled: 1-line block ×16, first 2 shown]
	s_waitcnt lgkmcnt(1)
	v_dot2c_f32_f16 v77, v112, v120
	v_dot2c_f32_f16 v76, v112, v121
	;; [unrolled: 1-line block ×16, first 2 shown]
	ds_read_b128 v[112:115], v80 offset:5120
	s_waitcnt lgkmcnt(1)
	v_dot2c_f32_f16 v63, v124, v116
	v_dot2c_f32_f16 v62, v124, v117
	;; [unrolled: 1-line block ×16, first 2 shown]
	ds_read_b128 v[116:119], v81 offset:21504
	v_dot2c_f32_f16 v61, v124, v120
	v_dot2c_f32_f16 v60, v124, v121
	;; [unrolled: 1-line block ×16, first 2 shown]
	ds_read_b128 v[120:123], v81 offset:21760
	ds_read_b128 v[124:127], v80 offset:5376
	s_waitcnt lgkmcnt(2)
	v_dot2c_f32_f16 v79, v112, v116
	v_dot2c_f32_f16 v78, v112, v117
	;; [unrolled: 1-line block ×16, first 2 shown]
	s_waitcnt lgkmcnt(1)
	v_dot2c_f32_f16 v77, v112, v120
	v_dot2c_f32_f16 v76, v112, v121
	;; [unrolled: 1-line block ×16, first 2 shown]
	ds_read_b128 v[112:115], v80 offset:5632
	s_waitcnt lgkmcnt(1)
	v_dot2c_f32_f16 v63, v124, v116
	v_dot2c_f32_f16 v62, v124, v117
	;; [unrolled: 1-line block ×16, first 2 shown]
	ds_read_b128 v[116:119], v81 offset:22016
	v_dot2c_f32_f16 v61, v124, v120
	v_dot2c_f32_f16 v60, v124, v121
	;; [unrolled: 1-line block ×16, first 2 shown]
	ds_read_b128 v[120:123], v81 offset:22272
	ds_read_b128 v[124:127], v80 offset:5888
	s_waitcnt lgkmcnt(2)
	v_dot2c_f32_f16 v79, v112, v116
	v_dot2c_f32_f16 v78, v112, v117
	;; [unrolled: 1-line block ×16, first 2 shown]
	s_waitcnt lgkmcnt(1)
	v_dot2c_f32_f16 v77, v112, v120
	v_dot2c_f32_f16 v76, v112, v121
	;; [unrolled: 1-line block ×16, first 2 shown]
	ds_read_b128 v[112:115], v80 offset:6144
	s_waitcnt lgkmcnt(1)
	v_dot2c_f32_f16 v63, v124, v116
	v_dot2c_f32_f16 v62, v124, v117
	;; [unrolled: 1-line block ×16, first 2 shown]
	ds_read_b128 v[116:119], v81 offset:22528
	v_dot2c_f32_f16 v61, v124, v120
	v_dot2c_f32_f16 v60, v124, v121
	v_dot2c_f32_f16 v19, v124, v122
	v_dot2c_f32_f16 v18, v124, v123
	v_dot2c_f32_f16 v56, v125, v120
	v_dot2c_f32_f16 v54, v125, v121
	v_dot2c_f32_f16 v21, v125, v122
	v_dot2c_f32_f16 v20, v125, v123
	v_dot2c_f32_f16 v48, v126, v120
	v_dot2c_f32_f16 v47, v126, v121
	v_dot2c_f32_f16 v27, v126, v122
	v_dot2c_f32_f16 v26, v126, v123
	v_dot2c_f32_f16 v55, v127, v120
	v_dot2c_f32_f16 v53, v127, v121
	v_dot2c_f32_f16 v28, v127, v122
	v_dot2c_f32_f16 v29, v127, v123
	ds_read_b128 v[120:123], v81 offset:22784
	ds_read_b128 v[124:127], v80 offset:6400
	s_waitcnt lgkmcnt(2)
	v_dot2c_f32_f16 v79, v112, v116
	v_dot2c_f32_f16 v78, v112, v117
	;; [unrolled: 1-line block ×16, first 2 shown]
	s_waitcnt lgkmcnt(1)
	v_dot2c_f32_f16 v77, v112, v120
	v_dot2c_f32_f16 v76, v112, v121
	;; [unrolled: 1-line block ×16, first 2 shown]
	ds_read_b128 v[112:115], v80 offset:6656
	s_waitcnt lgkmcnt(1)
	v_dot2c_f32_f16 v63, v124, v116
	v_dot2c_f32_f16 v62, v124, v117
	;; [unrolled: 1-line block ×16, first 2 shown]
	ds_read_b128 v[116:119], v81 offset:23040
	v_dot2c_f32_f16 v61, v124, v120
	v_dot2c_f32_f16 v60, v124, v121
	;; [unrolled: 1-line block ×16, first 2 shown]
	ds_read_b128 v[120:123], v81 offset:23296
	ds_read_b128 v[124:127], v80 offset:6912
	s_waitcnt lgkmcnt(2)
	v_dot2c_f32_f16 v79, v112, v116
	v_dot2c_f32_f16 v78, v112, v117
	;; [unrolled: 1-line block ×16, first 2 shown]
	s_waitcnt lgkmcnt(1)
	v_dot2c_f32_f16 v77, v112, v120
	v_dot2c_f32_f16 v76, v112, v121
	;; [unrolled: 1-line block ×16, first 2 shown]
	ds_read_b128 v[112:115], v80 offset:7168
	s_waitcnt lgkmcnt(1)
	v_dot2c_f32_f16 v63, v124, v116
	v_dot2c_f32_f16 v62, v124, v117
	;; [unrolled: 1-line block ×16, first 2 shown]
	ds_read_b128 v[116:119], v81 offset:23552
	v_dot2c_f32_f16 v61, v124, v120
	v_dot2c_f32_f16 v60, v124, v121
	;; [unrolled: 1-line block ×16, first 2 shown]
	ds_read_b128 v[120:123], v81 offset:23808
	ds_read_b128 v[124:127], v80 offset:7424
	s_waitcnt lgkmcnt(2)
	v_dot2c_f32_f16 v79, v112, v116
	v_dot2c_f32_f16 v78, v112, v117
	;; [unrolled: 1-line block ×16, first 2 shown]
	s_waitcnt lgkmcnt(1)
	v_dot2c_f32_f16 v77, v112, v120
	v_dot2c_f32_f16 v76, v112, v121
	;; [unrolled: 1-line block ×16, first 2 shown]
	ds_read_b128 v[112:115], v80 offset:7680
	s_waitcnt lgkmcnt(1)
	v_dot2c_f32_f16 v63, v124, v116
	v_dot2c_f32_f16 v62, v124, v117
	;; [unrolled: 1-line block ×16, first 2 shown]
	ds_read_b128 v[116:119], v81 offset:24064
	v_dot2c_f32_f16 v61, v124, v120
	v_dot2c_f32_f16 v60, v124, v121
	;; [unrolled: 1-line block ×16, first 2 shown]
	ds_read_b128 v[120:123], v81 offset:24320
	ds_read_b128 v[124:127], v80 offset:7936
	ds_write2st64_b32 v84, v99, v98 offset0:32 offset1:34
	ds_write2st64_b32 v84, v97, v94 offset0:36 offset1:38
	;; [unrolled: 1-line block ×8, first 2 shown]
	v_add_nc_u32_e32 v94, s37, v11
	s_waitcnt lgkmcnt(10)
	v_dot2c_f32_f16 v79, v112, v116
	v_dot2c_f32_f16 v78, v112, v117
	;; [unrolled: 1-line block ×4, first 2 shown]
	v_add_nc_u32_e32 v96, v94, v96
	v_cmp_gt_i32_e64 s1, s16, v94
	v_dot2c_f32_f16 v75, v113, v116
	v_dot2c_f32_f16 v74, v113, v117
	;; [unrolled: 1-line block ×3, first 2 shown]
	v_lshrrev_b32_e32 v105, s52, v96
	v_dot2c_f32_f16 v40, v113, v119
	v_dot2c_f32_f16 v71, v114, v116
	;; [unrolled: 1-line block ×4, first 2 shown]
	v_mad_u64_u32 v[103:104], null, s60, v105, v[94:95]
	v_sub_nc_u32_e32 v92, v105, v92
	s_waitcnt lgkmcnt(9)
	v_dot2c_f32_f16 v77, v112, v120
	v_dot2c_f32_f16 v76, v112, v121
	;; [unrolled: 1-line block ×4, first 2 shown]
	v_mul_lo_u32 v92, v92, s44
	v_sub_nc_u32_e32 v0, v103, v0
	v_dot2c_f32_f16 v73, v113, v120
	v_dot2c_f32_f16 v72, v113, v121
	;; [unrolled: 1-line block ×4, first 2 shown]
	v_mul_lo_u32 v0, v0, s18
	v_dot2c_f32_f16 v38, v114, v119
	v_add_nc_u32_e32 v104, v92, v1
	v_mul_lo_u32 v1, v92, s17
	v_dot2c_f32_f16 v67, v115, v116
	v_dot2c_f32_f16 v66, v115, v117
	;; [unrolled: 1-line block ×3, first 2 shown]
	v_cmp_gt_i32_e64 s3, s20, v104
	v_cmp_le_i32_e64 s2, s47, v104
	v_dot2c_f32_f16 v32, v115, v119
	v_dot2c_f32_f16 v69, v114, v120
	v_add3_u32 v93, v0, v1, v93
	s_and_b32 s1, s3, s1
	v_dot2c_f32_f16 v68, v114, v121
	s_and_b32 s1, s1, s2
	v_dot2c_f32_f16 v36, v114, v122
	v_lshlrev_b32_e32 v0, 1, v93
	s_and_b32 s1, vcc_lo, s1
	v_dot2c_f32_f16 v37, v114, v123
	v_dot2c_f32_f16 v65, v115, v120
	;; [unrolled: 1-line block ×3, first 2 shown]
	buffer_load_dwordx4 v[96:99], v0, s[24:27], 0 offen
	v_dot2c_f32_f16 v34, v115, v122
	v_dot2c_f32_f16 v35, v115, v123
	s_waitcnt lgkmcnt(8)
	v_dot2c_f32_f16 v63, v124, v116
	v_dot2c_f32_f16 v62, v124, v117
	;; [unrolled: 1-line block ×32, first 2 shown]
	s_waitcnt vmcnt(0)
	v_cndmask_b32_e64 v102, 0, v96, s1
	v_add_nc_u32_e32 v96, s37, v12
	v_cndmask_b32_e64 v99, 0, v99, s1
	v_cndmask_b32_e64 v100, 0, v98, s1
	;; [unrolled: 1-line block ×3, first 2 shown]
	s_add_i32 s1, s54, s55
	v_add_nc_u32_e32 v0, v96, v95
	v_add3_u32 v90, s1, s1, v90
	v_cmp_gt_i32_e64 s1, s16, v96
	s_add_i32 s37, s37, s59
	v_lshrrev_b32_e32 v1, s52, v0
	v_mul_lo_u32 v0, v1, s51
	v_sub_nc_u32_e32 v94, v90, v0
	v_mul_lo_u32 v0, s60, v1
	v_add_nc_u32_e32 v92, v96, v0
	v_sub_nc_u32_e32 v95, v92, v103
	v_sub_nc_u32_e32 v92, v1, v105
	v_mul_lo_u32 v95, v95, s18
	v_mul_lo_u32 v97, v92, s44
	v_add_nc_u32_e32 v92, v97, v104
	v_mul_lo_u32 v97, v97, s17
	v_cmp_gt_i32_e64 s3, s20, v92
	v_cmp_le_i32_e64 s2, s47, v92
	v_add3_u32 v93, v95, v97, v93
	s_and_b32 s1, s3, s1
	s_and_b32 s1, s1, s2
	v_lshlrev_b32_e32 v95, 1, v93
	s_and_b32 s1, vcc_lo, s1
	buffer_load_dwordx4 v[95:98], v95, s[24:27], 0 offen
	s_waitcnt vmcnt(0)
	v_cndmask_b32_e64 v106, 0, v95, s1
	v_add_nc_u32_e32 v95, v14, v91
	v_cndmask_b32_e64 v103, 0, v98, s1
	v_cndmask_b32_e64 v104, 0, v97, s1
	;; [unrolled: 1-line block ×3, first 2 shown]
	v_cmp_gt_i32_e64 s1, s48, v6
	buffer_load_dwordx4 v[107:110], v95, s[28:31], 0 offen
	v_add_nc_u32_e32 v6, s57, v6
	s_and_b32 s1, s0, s1
	s_waitcnt vmcnt(0)
	v_cndmask_b32_e64 v98, 0, v107, s1
	v_add_nc_u32_e32 v107, v13, v91
	v_cndmask_b32_e64 v95, 0, v110, s1
	v_cndmask_b32_e64 v96, 0, v109, s1
	;; [unrolled: 1-line block ×3, first 2 shown]
	s_add_i32 s1, s45, s41
	buffer_load_dwordx4 v[110:113], v107, s[28:31], 0 offen
	v_add3_u32 v4, s1, s1, v4
	v_cmp_gt_i32_e64 s1, s48, v5
	s_waitcnt lgkmcnt(0)
	s_barrier
	v_add_nc_u32_e32 v5, s57, v5
	v_add_nc_u32_e32 v91, s58, v91
	s_and_b32 s1, s0, s1
	s_cmp_lt_i32 s56, s22
	s_waitcnt vmcnt(0)
	v_cndmask_b32_e64 v107, 0, v113, s1
	v_cndmask_b32_e64 v108, 0, v112, s1
	v_cndmask_b32_e64 v109, 0, v111, s1
	ds_read_b128 v[111:114], v80 offset:8192
	ds_read_b128 v[115:118], v81 offset:24576
	;; [unrolled: 1-line block ×4, first 2 shown]
	v_cndmask_b32_e64 v110, 0, v110, s1
	s_waitcnt lgkmcnt(2)
	v_dot2c_f32_f16 v79, v111, v115
	v_dot2c_f32_f16 v78, v111, v116
	;; [unrolled: 1-line block ×16, first 2 shown]
	s_waitcnt lgkmcnt(1)
	v_dot2c_f32_f16 v77, v111, v119
	v_dot2c_f32_f16 v76, v111, v120
	;; [unrolled: 1-line block ×16, first 2 shown]
	ds_read_b128 v[111:114], v80 offset:8704
	s_waitcnt lgkmcnt(1)
	v_dot2c_f32_f16 v63, v123, v115
	v_dot2c_f32_f16 v62, v123, v116
	;; [unrolled: 1-line block ×16, first 2 shown]
	ds_read_b128 v[115:118], v81 offset:25088
	v_dot2c_f32_f16 v61, v123, v119
	v_dot2c_f32_f16 v60, v123, v120
	;; [unrolled: 1-line block ×16, first 2 shown]
	ds_read_b128 v[119:122], v81 offset:25344
	ds_read_b128 v[123:126], v80 offset:8960
	s_waitcnt lgkmcnt(2)
	v_dot2c_f32_f16 v79, v111, v115
	v_dot2c_f32_f16 v78, v111, v116
	;; [unrolled: 1-line block ×16, first 2 shown]
	s_waitcnt lgkmcnt(1)
	v_dot2c_f32_f16 v77, v111, v119
	v_dot2c_f32_f16 v76, v111, v120
	;; [unrolled: 1-line block ×16, first 2 shown]
	ds_read_b128 v[111:114], v80 offset:9216
	s_waitcnt lgkmcnt(1)
	v_dot2c_f32_f16 v63, v123, v115
	v_dot2c_f32_f16 v62, v123, v116
	v_dot2c_f32_f16 v17, v123, v117
	v_dot2c_f32_f16 v16, v123, v118
	v_dot2c_f32_f16 v58, v124, v115
	v_dot2c_f32_f16 v57, v124, v116
	v_dot2c_f32_f16 v23, v124, v117
	v_dot2c_f32_f16 v22, v124, v118
	v_dot2c_f32_f16 v50, v125, v115
	v_dot2c_f32_f16 v49, v125, v116
	v_dot2c_f32_f16 v25, v125, v117
	v_dot2c_f32_f16 v24, v125, v118
	v_dot2c_f32_f16 v46, v126, v115
	v_dot2c_f32_f16 v59, v126, v116
	v_dot2c_f32_f16 v30, v126, v117
	v_dot2c_f32_f16 v31, v126, v118
	ds_read_b128 v[115:118], v81 offset:25600
	v_dot2c_f32_f16 v61, v123, v119
	v_dot2c_f32_f16 v60, v123, v120
	;; [unrolled: 1-line block ×16, first 2 shown]
	ds_read_b128 v[119:122], v81 offset:25856
	ds_read_b128 v[123:126], v80 offset:9472
	s_waitcnt lgkmcnt(2)
	v_dot2c_f32_f16 v79, v111, v115
	v_dot2c_f32_f16 v78, v111, v116
	;; [unrolled: 1-line block ×16, first 2 shown]
	s_waitcnt lgkmcnt(1)
	v_dot2c_f32_f16 v77, v111, v119
	v_dot2c_f32_f16 v76, v111, v120
	v_dot2c_f32_f16 v45, v111, v121
	v_dot2c_f32_f16 v44, v111, v122
	v_dot2c_f32_f16 v73, v112, v119
	v_dot2c_f32_f16 v72, v112, v120
	v_dot2c_f32_f16 v42, v112, v121
	v_dot2c_f32_f16 v43, v112, v122
	v_dot2c_f32_f16 v69, v113, v119
	v_dot2c_f32_f16 v68, v113, v120
	v_dot2c_f32_f16 v36, v113, v121
	v_dot2c_f32_f16 v37, v113, v122
	v_dot2c_f32_f16 v65, v114, v119
	v_dot2c_f32_f16 v64, v114, v120
	v_dot2c_f32_f16 v34, v114, v121
	v_dot2c_f32_f16 v35, v114, v122
	ds_read_b128 v[111:114], v80 offset:9728
	s_waitcnt lgkmcnt(1)
	v_dot2c_f32_f16 v63, v123, v115
	v_dot2c_f32_f16 v62, v123, v116
	v_dot2c_f32_f16 v17, v123, v117
	v_dot2c_f32_f16 v16, v123, v118
	v_dot2c_f32_f16 v58, v124, v115
	v_dot2c_f32_f16 v57, v124, v116
	v_dot2c_f32_f16 v23, v124, v117
	v_dot2c_f32_f16 v22, v124, v118
	v_dot2c_f32_f16 v50, v125, v115
	v_dot2c_f32_f16 v49, v125, v116
	v_dot2c_f32_f16 v25, v125, v117
	v_dot2c_f32_f16 v24, v125, v118
	v_dot2c_f32_f16 v46, v126, v115
	v_dot2c_f32_f16 v59, v126, v116
	v_dot2c_f32_f16 v30, v126, v117
	v_dot2c_f32_f16 v31, v126, v118
	ds_read_b128 v[115:118], v81 offset:26112
	v_dot2c_f32_f16 v61, v123, v119
	v_dot2c_f32_f16 v60, v123, v120
	;; [unrolled: 1-line block ×16, first 2 shown]
	ds_read_b128 v[119:122], v81 offset:26368
	ds_read_b128 v[123:126], v80 offset:9984
	s_waitcnt lgkmcnt(2)
	v_dot2c_f32_f16 v79, v111, v115
	v_dot2c_f32_f16 v78, v111, v116
	;; [unrolled: 1-line block ×16, first 2 shown]
	s_waitcnt lgkmcnt(1)
	v_dot2c_f32_f16 v77, v111, v119
	v_dot2c_f32_f16 v76, v111, v120
	;; [unrolled: 1-line block ×16, first 2 shown]
	ds_read_b128 v[111:114], v80 offset:10240
	s_waitcnt lgkmcnt(1)
	v_dot2c_f32_f16 v63, v123, v115
	v_dot2c_f32_f16 v62, v123, v116
	;; [unrolled: 1-line block ×16, first 2 shown]
	ds_read_b128 v[115:118], v81 offset:26624
	v_dot2c_f32_f16 v61, v123, v119
	v_dot2c_f32_f16 v60, v123, v120
	;; [unrolled: 1-line block ×16, first 2 shown]
	ds_read_b128 v[119:122], v81 offset:26880
	ds_read_b128 v[123:126], v80 offset:10496
	s_waitcnt lgkmcnt(2)
	v_dot2c_f32_f16 v79, v111, v115
	v_dot2c_f32_f16 v78, v111, v116
	;; [unrolled: 1-line block ×16, first 2 shown]
	s_waitcnt lgkmcnt(1)
	v_dot2c_f32_f16 v77, v111, v119
	v_dot2c_f32_f16 v76, v111, v120
	;; [unrolled: 1-line block ×16, first 2 shown]
	ds_read_b128 v[111:114], v80 offset:10752
	s_waitcnt lgkmcnt(1)
	v_dot2c_f32_f16 v63, v123, v115
	v_dot2c_f32_f16 v62, v123, v116
	;; [unrolled: 1-line block ×16, first 2 shown]
	ds_read_b128 v[115:118], v81 offset:27136
	v_dot2c_f32_f16 v61, v123, v119
	v_dot2c_f32_f16 v60, v123, v120
	;; [unrolled: 1-line block ×16, first 2 shown]
	ds_read_b128 v[119:122], v81 offset:27392
	ds_read_b128 v[123:126], v80 offset:11008
	s_waitcnt lgkmcnt(2)
	v_dot2c_f32_f16 v79, v111, v115
	v_dot2c_f32_f16 v78, v111, v116
	;; [unrolled: 1-line block ×16, first 2 shown]
	s_waitcnt lgkmcnt(1)
	v_dot2c_f32_f16 v77, v111, v119
	v_dot2c_f32_f16 v76, v111, v120
	v_dot2c_f32_f16 v45, v111, v121
	v_dot2c_f32_f16 v44, v111, v122
	v_dot2c_f32_f16 v73, v112, v119
	v_dot2c_f32_f16 v72, v112, v120
	v_dot2c_f32_f16 v42, v112, v121
	v_dot2c_f32_f16 v43, v112, v122
	v_dot2c_f32_f16 v69, v113, v119
	v_dot2c_f32_f16 v68, v113, v120
	v_dot2c_f32_f16 v36, v113, v121
	v_dot2c_f32_f16 v37, v113, v122
	v_dot2c_f32_f16 v65, v114, v119
	v_dot2c_f32_f16 v64, v114, v120
	v_dot2c_f32_f16 v34, v114, v121
	v_dot2c_f32_f16 v35, v114, v122
	ds_read_b128 v[111:114], v80 offset:11264
	s_waitcnt lgkmcnt(1)
	v_dot2c_f32_f16 v63, v123, v115
	v_dot2c_f32_f16 v62, v123, v116
	;; [unrolled: 1-line block ×16, first 2 shown]
	ds_read_b128 v[115:118], v81 offset:27648
	v_dot2c_f32_f16 v61, v123, v119
	v_dot2c_f32_f16 v60, v123, v120
	;; [unrolled: 1-line block ×16, first 2 shown]
	ds_read_b128 v[119:122], v81 offset:27904
	ds_read_b128 v[123:126], v80 offset:11520
	s_waitcnt lgkmcnt(2)
	v_dot2c_f32_f16 v79, v111, v115
	v_dot2c_f32_f16 v78, v111, v116
	;; [unrolled: 1-line block ×16, first 2 shown]
	s_waitcnt lgkmcnt(1)
	v_dot2c_f32_f16 v77, v111, v119
	v_dot2c_f32_f16 v76, v111, v120
	;; [unrolled: 1-line block ×16, first 2 shown]
	ds_read_b128 v[111:114], v80 offset:11776
	s_waitcnt lgkmcnt(1)
	v_dot2c_f32_f16 v63, v123, v115
	v_dot2c_f32_f16 v62, v123, v116
	;; [unrolled: 1-line block ×16, first 2 shown]
	ds_read_b128 v[115:118], v81 offset:28160
	v_dot2c_f32_f16 v61, v123, v119
	v_dot2c_f32_f16 v60, v123, v120
	;; [unrolled: 1-line block ×16, first 2 shown]
	ds_read_b128 v[119:122], v81 offset:28416
	ds_read_b128 v[123:126], v80 offset:12032
	s_waitcnt lgkmcnt(2)
	v_dot2c_f32_f16 v79, v111, v115
	v_dot2c_f32_f16 v78, v111, v116
	;; [unrolled: 1-line block ×16, first 2 shown]
	s_waitcnt lgkmcnt(1)
	v_dot2c_f32_f16 v77, v111, v119
	v_dot2c_f32_f16 v76, v111, v120
	;; [unrolled: 1-line block ×16, first 2 shown]
	ds_read_b128 v[111:114], v80 offset:12288
	s_waitcnt lgkmcnt(1)
	v_dot2c_f32_f16 v63, v123, v115
	v_dot2c_f32_f16 v62, v123, v116
	;; [unrolled: 1-line block ×16, first 2 shown]
	ds_read_b128 v[115:118], v81 offset:28672
	v_dot2c_f32_f16 v61, v123, v119
	v_dot2c_f32_f16 v60, v123, v120
	;; [unrolled: 1-line block ×16, first 2 shown]
	ds_read_b128 v[119:122], v81 offset:28928
	ds_read_b128 v[123:126], v80 offset:12544
	s_waitcnt lgkmcnt(2)
	v_dot2c_f32_f16 v79, v111, v115
	v_dot2c_f32_f16 v78, v111, v116
	;; [unrolled: 1-line block ×16, first 2 shown]
	s_waitcnt lgkmcnt(1)
	v_dot2c_f32_f16 v77, v111, v119
	v_dot2c_f32_f16 v76, v111, v120
	;; [unrolled: 1-line block ×16, first 2 shown]
	ds_read_b128 v[111:114], v80 offset:12800
	s_waitcnt lgkmcnt(1)
	v_dot2c_f32_f16 v63, v123, v115
	v_dot2c_f32_f16 v62, v123, v116
	;; [unrolled: 1-line block ×16, first 2 shown]
	ds_read_b128 v[115:118], v81 offset:29184
	v_dot2c_f32_f16 v61, v123, v119
	v_dot2c_f32_f16 v60, v123, v120
	;; [unrolled: 1-line block ×16, first 2 shown]
	ds_read_b128 v[119:122], v81 offset:29440
	ds_read_b128 v[123:126], v80 offset:13056
	s_waitcnt lgkmcnt(2)
	v_dot2c_f32_f16 v79, v111, v115
	v_dot2c_f32_f16 v78, v111, v116
	;; [unrolled: 1-line block ×16, first 2 shown]
	s_waitcnt lgkmcnt(1)
	v_dot2c_f32_f16 v77, v111, v119
	v_dot2c_f32_f16 v76, v111, v120
	;; [unrolled: 1-line block ×16, first 2 shown]
	ds_read_b128 v[111:114], v80 offset:13312
	s_waitcnt lgkmcnt(1)
	v_dot2c_f32_f16 v63, v123, v115
	v_dot2c_f32_f16 v62, v123, v116
	;; [unrolled: 1-line block ×16, first 2 shown]
	ds_read_b128 v[115:118], v81 offset:29696
	v_dot2c_f32_f16 v61, v123, v119
	v_dot2c_f32_f16 v60, v123, v120
	;; [unrolled: 1-line block ×16, first 2 shown]
	ds_read_b128 v[119:122], v81 offset:29952
	ds_read_b128 v[123:126], v80 offset:13568
	s_waitcnt lgkmcnt(2)
	v_dot2c_f32_f16 v79, v111, v115
	v_dot2c_f32_f16 v78, v111, v116
	;; [unrolled: 1-line block ×16, first 2 shown]
	s_waitcnt lgkmcnt(1)
	v_dot2c_f32_f16 v77, v111, v119
	v_dot2c_f32_f16 v76, v111, v120
	;; [unrolled: 1-line block ×16, first 2 shown]
	ds_read_b128 v[111:114], v80 offset:13824
	s_waitcnt lgkmcnt(1)
	v_dot2c_f32_f16 v63, v123, v115
	v_dot2c_f32_f16 v62, v123, v116
	;; [unrolled: 1-line block ×16, first 2 shown]
	ds_read_b128 v[115:118], v81 offset:30208
	v_dot2c_f32_f16 v61, v123, v119
	v_dot2c_f32_f16 v60, v123, v120
	;; [unrolled: 1-line block ×16, first 2 shown]
	ds_read_b128 v[119:122], v81 offset:30464
	ds_read_b128 v[123:126], v80 offset:14080
	s_waitcnt lgkmcnt(2)
	v_dot2c_f32_f16 v79, v111, v115
	v_dot2c_f32_f16 v78, v111, v116
	v_dot2c_f32_f16 v52, v111, v117
	v_dot2c_f32_f16 v51, v111, v118
	v_dot2c_f32_f16 v75, v112, v115
	v_dot2c_f32_f16 v74, v112, v116
	v_dot2c_f32_f16 v41, v112, v117
	v_dot2c_f32_f16 v40, v112, v118
	v_dot2c_f32_f16 v71, v113, v115
	v_dot2c_f32_f16 v70, v113, v116
	v_dot2c_f32_f16 v39, v113, v117
	v_dot2c_f32_f16 v38, v113, v118
	v_dot2c_f32_f16 v67, v114, v115
	v_dot2c_f32_f16 v66, v114, v116
	v_dot2c_f32_f16 v33, v114, v117
	v_dot2c_f32_f16 v32, v114, v118
	s_waitcnt lgkmcnt(1)
	v_dot2c_f32_f16 v77, v111, v119
	v_dot2c_f32_f16 v76, v111, v120
	;; [unrolled: 1-line block ×16, first 2 shown]
	ds_read_b128 v[111:114], v80 offset:14336
	s_waitcnt lgkmcnt(1)
	v_dot2c_f32_f16 v63, v123, v115
	v_dot2c_f32_f16 v62, v123, v116
	;; [unrolled: 1-line block ×16, first 2 shown]
	ds_read_b128 v[115:118], v81 offset:30720
	v_dot2c_f32_f16 v61, v123, v119
	v_dot2c_f32_f16 v60, v123, v120
	;; [unrolled: 1-line block ×16, first 2 shown]
	ds_read_b128 v[119:122], v81 offset:30976
	ds_read_b128 v[123:126], v80 offset:14592
	s_waitcnt lgkmcnt(2)
	v_dot2c_f32_f16 v79, v111, v115
	v_dot2c_f32_f16 v78, v111, v116
	;; [unrolled: 1-line block ×16, first 2 shown]
	s_waitcnt lgkmcnt(1)
	v_dot2c_f32_f16 v77, v111, v119
	v_dot2c_f32_f16 v76, v111, v120
	;; [unrolled: 1-line block ×16, first 2 shown]
	ds_read_b128 v[111:114], v80 offset:14848
	s_waitcnt lgkmcnt(1)
	v_dot2c_f32_f16 v63, v123, v115
	v_dot2c_f32_f16 v62, v123, v116
	;; [unrolled: 1-line block ×16, first 2 shown]
	ds_read_b128 v[115:118], v81 offset:31232
	v_dot2c_f32_f16 v61, v123, v119
	v_dot2c_f32_f16 v60, v123, v120
	;; [unrolled: 1-line block ×16, first 2 shown]
	ds_read_b128 v[119:122], v81 offset:31488
	ds_read_b128 v[123:126], v80 offset:15104
	s_waitcnt lgkmcnt(2)
	v_dot2c_f32_f16 v79, v111, v115
	v_dot2c_f32_f16 v78, v111, v116
	;; [unrolled: 1-line block ×16, first 2 shown]
	s_waitcnt lgkmcnt(1)
	v_dot2c_f32_f16 v77, v111, v119
	v_dot2c_f32_f16 v76, v111, v120
	;; [unrolled: 1-line block ×16, first 2 shown]
	ds_read_b128 v[111:114], v80 offset:15360
	s_waitcnt lgkmcnt(1)
	v_dot2c_f32_f16 v63, v123, v115
	v_dot2c_f32_f16 v62, v123, v116
	;; [unrolled: 1-line block ×16, first 2 shown]
	ds_read_b128 v[115:118], v81 offset:31744
	v_dot2c_f32_f16 v61, v123, v119
	v_dot2c_f32_f16 v60, v123, v120
	;; [unrolled: 1-line block ×16, first 2 shown]
	ds_read_b128 v[119:122], v81 offset:32000
	ds_read_b128 v[123:126], v80 offset:15616
	s_waitcnt lgkmcnt(2)
	v_dot2c_f32_f16 v79, v111, v115
	v_dot2c_f32_f16 v78, v111, v116
	;; [unrolled: 1-line block ×16, first 2 shown]
	s_waitcnt lgkmcnt(1)
	v_dot2c_f32_f16 v77, v111, v119
	v_dot2c_f32_f16 v76, v111, v120
	;; [unrolled: 1-line block ×16, first 2 shown]
	ds_read_b128 v[111:114], v80 offset:15872
	s_waitcnt lgkmcnt(1)
	v_dot2c_f32_f16 v63, v123, v115
	v_dot2c_f32_f16 v62, v123, v116
	;; [unrolled: 1-line block ×16, first 2 shown]
	ds_read_b128 v[115:118], v81 offset:32256
	v_dot2c_f32_f16 v61, v123, v119
	v_dot2c_f32_f16 v60, v123, v120
	;; [unrolled: 1-line block ×16, first 2 shown]
	ds_read_b128 v[119:122], v81 offset:32512
	ds_read_b128 v[123:126], v80 offset:16128
	ds_write2st64_b32 v84, v102, v101 offset1:2
	ds_write2st64_b32 v84, v100, v99 offset0:4 offset1:6
	ds_write2st64_b32 v84, v106, v105 offset0:8 offset1:10
	;; [unrolled: 1-line block ×7, first 2 shown]
	s_waitcnt lgkmcnt(10)
	v_dot2c_f32_f16 v79, v111, v115
	v_dot2c_f32_f16 v78, v111, v116
	v_dot2c_f32_f16 v52, v111, v117
	v_dot2c_f32_f16 v51, v111, v118
	v_dot2c_f32_f16 v75, v112, v115
	v_dot2c_f32_f16 v74, v112, v116
	v_dot2c_f32_f16 v41, v112, v117
	v_dot2c_f32_f16 v40, v112, v118
	v_dot2c_f32_f16 v71, v113, v115
	v_dot2c_f32_f16 v70, v113, v116
	v_dot2c_f32_f16 v39, v113, v117
	v_dot2c_f32_f16 v38, v113, v118
	v_dot2c_f32_f16 v67, v114, v115
	v_dot2c_f32_f16 v66, v114, v116
	v_dot2c_f32_f16 v33, v114, v117
	v_dot2c_f32_f16 v32, v114, v118
	s_waitcnt lgkmcnt(9)
	v_dot2c_f32_f16 v77, v111, v119
	v_dot2c_f32_f16 v76, v111, v120
	v_dot2c_f32_f16 v45, v111, v121
	v_dot2c_f32_f16 v44, v111, v122
	v_dot2c_f32_f16 v73, v112, v119
	v_dot2c_f32_f16 v72, v112, v120
	v_dot2c_f32_f16 v42, v112, v121
	v_dot2c_f32_f16 v43, v112, v122
	v_dot2c_f32_f16 v69, v113, v119
	v_dot2c_f32_f16 v68, v113, v120
	v_dot2c_f32_f16 v36, v113, v121
	v_dot2c_f32_f16 v37, v113, v122
	v_dot2c_f32_f16 v65, v114, v119
	v_dot2c_f32_f16 v64, v114, v120
	v_dot2c_f32_f16 v34, v114, v121
	v_dot2c_f32_f16 v35, v114, v122
	;; [unrolled: 17-line block ×3, first 2 shown]
	v_dot2c_f32_f16 v61, v123, v119
	v_dot2c_f32_f16 v60, v123, v120
	v_dot2c_f32_f16 v19, v123, v121
	v_dot2c_f32_f16 v18, v123, v122
	v_dot2c_f32_f16 v56, v124, v119
	v_dot2c_f32_f16 v54, v124, v120
	v_dot2c_f32_f16 v21, v124, v121
	v_dot2c_f32_f16 v20, v124, v122
	v_dot2c_f32_f16 v48, v125, v119
	v_dot2c_f32_f16 v47, v125, v120
	v_dot2c_f32_f16 v27, v125, v121
	v_dot2c_f32_f16 v26, v125, v122
	v_dot2c_f32_f16 v55, v126, v119
	v_dot2c_f32_f16 v53, v126, v120
	v_dot2c_f32_f16 v28, v126, v121
	v_dot2c_f32_f16 v29, v126, v122
	s_cbranch_scc1 .LBB1_1
; %bb.2:
	v_add3_u32 v86, s55, s37, v2
	v_add3_u32 v2, v2, v0, s37
	v_add_nc_u32_e32 v89, s41, v4
	s_waitcnt lgkmcnt(0)
	s_barrier
	v_mul_hi_u32 v5, v86, s53
	v_add_nc_u32_e32 v88, s54, v86
	v_add_nc_u32_e32 v3, v89, v3
	ds_read_b128 v[94:97], v80
	ds_read_b128 v[98:101], v81 offset:16384
	ds_read_b128 v[102:105], v81 offset:16640
	;; [unrolled: 1-line block ×3, first 2 shown]
	v_mul_hi_u32 v0, v88, s53
	v_add_lshl_u32 v10, v3, s45, 1
	v_add_nc_u32_e32 v5, v86, v5
	s_load_dwordx2 s[6:7], s[4:5], 0x10
	s_mul_i32 s3, s14, s50
	s_mul_hi_u32 s9, s14, s49
	s_mul_i32 s1, s15, s49
	v_lshrrev_b32_e32 v5, s52, v5
	v_add_nc_u32_e32 v0, v88, v0
	s_add_i32 s3, s9, s3
	s_mul_i32 s2, s14, s49
	s_add_i32 s3, s3, s1
	v_mul_lo_u32 v6, v5, s51
	v_lshrrev_b32_e32 v4, s52, v0
	v_sub_nc_u32_e32 v1, v5, v1
	s_lshl_b64 s[2:3], s[2:3], 1
	s_mul_i32 s5, s12, s50
	s_mul_hi_u32 s10, s12, s49
	v_sub_nc_u32_e32 v5, v4, v5
	v_mul_lo_u32 v87, v1, s44
	v_sub_nc_u32_e32 v0, v86, v6
	s_waitcnt lgkmcnt(0)
	v_dot2c_f32_f16 v79, v94, v98
	v_dot2c_f32_f16 v78, v94, v99
	v_mul_lo_u32 v85, v5, s44
	v_dot2c_f32_f16 v52, v94, v100
	v_sub_nc_u32_e32 v2, v0, v2
	v_mad_u64_u32 v[0:1], null, v4, s51, v[0:1]
	v_mul_lo_u32 v5, v87, s17
	v_lshlrev_b32_e32 v1, 1, v3
	v_mul_lo_u32 v6, v2, s18
	v_mul_lo_u32 v4, v85, s17
	v_dot2c_f32_f16 v51, v94, v101
	v_dot2c_f32_f16 v75, v95, v98
	v_sub_nc_u32_e32 v7, v88, v0
	buffer_load_dwordx4 v[0:3], v1, s[28:31], 0 offen
	ds_read_b128 v[110:113], v81 offset:16896
	ds_read_b128 v[114:117], v81 offset:17152
	v_dot2c_f32_f16 v74, v95, v99
	v_add3_u32 v11, v6, v5, v93
	v_mad_u64_u32 v[8:9], null, v7, s18, v[4:5]
	buffer_load_dwordx4 v[4:7], v10, s[28:31], 0 offen
	ds_read_b128 v[118:121], v80 offset:512
	ds_read_b128 v[122:125], v80 offset:768
	v_lshlrev_b32_e32 v9, 1, v11
	v_dot2c_f32_f16 v41, v95, v100
	v_dot2c_f32_f16 v40, v95, v101
	;; [unrolled: 1-line block ×3, first 2 shown]
	v_add_lshl_u32 v12, v8, v11, 1
	buffer_load_dwordx4 v[8:11], v9, s[24:27], 0 offen
	v_dot2c_f32_f16 v70, v96, v99
	v_dot2c_f32_f16 v39, v96, v100
	;; [unrolled: 1-line block ×3, first 2 shown]
	buffer_load_dwordx4 v[12:15], v12, s[24:27], 0 offen
	v_dot2c_f32_f16 v67, v97, v98
	v_dot2c_f32_f16 v66, v97, v99
	;; [unrolled: 1-line block ×36, first 2 shown]
	ds_read_b128 v[93:96], v81 offset:17408
	ds_read_b128 v[97:100], v81 offset:17664
	v_dot2c_f32_f16 v61, v106, v102
	v_dot2c_f32_f16 v60, v106, v103
	;; [unrolled: 1-line block ×16, first 2 shown]
	ds_read_b128 v[101:104], v80 offset:1024
	ds_read_b128 v[105:108], v80 offset:1280
	s_waitcnt lgkmcnt(5)
	v_dot2c_f32_f16 v79, v118, v110
	v_dot2c_f32_f16 v78, v118, v111
	;; [unrolled: 1-line block ×32, first 2 shown]
	s_waitcnt lgkmcnt(4)
	v_dot2c_f32_f16 v63, v122, v110
	v_dot2c_f32_f16 v62, v122, v111
	;; [unrolled: 1-line block ×16, first 2 shown]
	ds_read_b128 v[109:112], v81 offset:17920
	ds_read_b128 v[118:121], v81 offset:18176
	v_dot2c_f32_f16 v61, v122, v114
	v_dot2c_f32_f16 v60, v122, v115
	;; [unrolled: 1-line block ×16, first 2 shown]
	ds_read_b128 v[113:116], v80 offset:1536
	ds_read_b128 v[122:125], v80 offset:1792
	s_waitcnt lgkmcnt(5)
	v_dot2c_f32_f16 v79, v101, v93
	v_dot2c_f32_f16 v78, v101, v94
	;; [unrolled: 1-line block ×32, first 2 shown]
	s_waitcnt lgkmcnt(4)
	v_dot2c_f32_f16 v63, v105, v93
	v_dot2c_f32_f16 v62, v105, v94
	v_dot2c_f32_f16 v17, v105, v95
	v_dot2c_f32_f16 v16, v105, v96
	v_dot2c_f32_f16 v58, v106, v93
	v_dot2c_f32_f16 v57, v106, v94
	v_dot2c_f32_f16 v23, v106, v95
	v_dot2c_f32_f16 v22, v106, v96
	v_dot2c_f32_f16 v50, v107, v93
	v_dot2c_f32_f16 v49, v107, v94
	v_dot2c_f32_f16 v25, v107, v95
	v_dot2c_f32_f16 v24, v107, v96
	v_dot2c_f32_f16 v46, v108, v93
	v_dot2c_f32_f16 v59, v108, v94
	v_dot2c_f32_f16 v30, v108, v95
	v_dot2c_f32_f16 v31, v108, v96
	ds_read_b128 v[93:96], v81 offset:18432
	ds_read_b128 v[101:104], v81 offset:18688
	v_dot2c_f32_f16 v61, v105, v97
	v_dot2c_f32_f16 v60, v105, v98
	;; [unrolled: 1-line block ×16, first 2 shown]
	ds_read_b128 v[97:100], v80 offset:2048
	ds_read_b128 v[105:108], v80 offset:2304
	s_mul_i32 s4, s12, s49
	v_cmp_gt_i32_e64 s1, s16, v86
	v_add_nc_u32_e32 v86, s45, v89
	s_add_u32 s12, s42, s2
	s_mul_i32 s8, s13, s49
	s_addc_u32 s9, s43, s3
	s_add_i32 s3, s10, s5
	s_waitcnt lgkmcnt(5)
	v_dot2c_f32_f16 v79, v113, v109
	s_add_i32 s5, s3, s8
	v_dot2c_f32_f16 v78, v113, v110
	s_lshl_b64 s[14:15], s[4:5], 1
	v_cmp_gt_i32_e64 s4, s48, v86
	v_dot2c_f32_f16 v52, v113, v111
	v_dot2c_f32_f16 v51, v113, v112
	;; [unrolled: 1-line block ×30, first 2 shown]
	s_waitcnt lgkmcnt(4)
	v_dot2c_f32_f16 v63, v122, v109
	v_dot2c_f32_f16 v62, v122, v110
	;; [unrolled: 1-line block ×20, first 2 shown]
	v_add_nc_u32_e32 v86, v87, v92
	v_cmp_gt_i32_e64 s3, s16, v88
	s_add_u32 s16, s6, s14
	v_cmp_gt_i32_e64 s2, s48, v89
	s_addc_u32 s10, s7, s15
	s_waitcnt lgkmcnt(1)
	v_dot2c_f32_f16 v79, v97, v93
	v_dot2c_f32_f16 v78, v97, v94
	;; [unrolled: 1-line block ×12, first 2 shown]
	v_add_nc_u32_e32 v85, v85, v86
	v_dot2c_f32_f16 v67, v100, v93
	v_dot2c_f32_f16 v66, v100, v94
	;; [unrolled: 1-line block ×3, first 2 shown]
	v_cmp_gt_i32_e64 s5, s20, v86
	v_cmp_le_i32_e64 s7, s47, v86
	v_dot2c_f32_f16 v32, v100, v96
	v_dot2c_f32_f16 v77, v97, v101
	v_dot2c_f32_f16 v76, v97, v102
	v_dot2c_f32_f16 v45, v97, v103
	v_dot2c_f32_f16 v44, v97, v104
	v_dot2c_f32_f16 v73, v98, v101
	v_dot2c_f32_f16 v72, v98, v102
	v_dot2c_f32_f16 v42, v98, v103
	v_dot2c_f32_f16 v43, v98, v104
	v_dot2c_f32_f16 v69, v99, v101
	v_dot2c_f32_f16 v68, v99, v102
	v_dot2c_f32_f16 v36, v99, v103
	v_dot2c_f32_f16 v37, v99, v104
	v_dot2c_f32_f16 v65, v100, v101
	v_dot2c_f32_f16 v64, v100, v102
	v_dot2c_f32_f16 v34, v100, v103
	v_dot2c_f32_f16 v35, v100, v104
	ds_read_b128 v[86:89], v80 offset:2560
	s_waitcnt lgkmcnt(1)
	v_dot2c_f32_f16 v63, v105, v93
	v_dot2c_f32_f16 v62, v105, v94
	;; [unrolled: 1-line block ×15, first 2 shown]
	ds_read_b128 v[90:93], v81 offset:18944
	v_dot2c_f32_f16 v31, v108, v96
	v_dot2c_f32_f16 v61, v105, v101
	;; [unrolled: 1-line block ×5, first 2 shown]
	ds_read_b128 v[94:97], v81 offset:19200
	ds_read_b128 v[98:101], v80 offset:2816
	v_dot2c_f32_f16 v60, v122, v119
	v_dot2c_f32_f16 v19, v122, v120
	;; [unrolled: 1-line block ×24, first 2 shown]
	s_waitcnt lgkmcnt(2)
	v_dot2c_f32_f16 v79, v86, v90
	v_dot2c_f32_f16 v78, v86, v91
	;; [unrolled: 1-line block ×16, first 2 shown]
	s_waitcnt lgkmcnt(1)
	v_dot2c_f32_f16 v77, v86, v94
	v_dot2c_f32_f16 v76, v86, v95
	;; [unrolled: 1-line block ×16, first 2 shown]
	ds_read_b128 v[86:89], v80 offset:3072
	s_waitcnt lgkmcnt(1)
	v_dot2c_f32_f16 v63, v98, v90
	v_dot2c_f32_f16 v62, v98, v91
	;; [unrolled: 1-line block ×15, first 2 shown]
	ds_read_b128 v[102:105], v81 offset:19456
	v_dot2c_f32_f16 v31, v101, v93
	v_dot2c_f32_f16 v61, v98, v94
	v_dot2c_f32_f16 v60, v98, v95
	v_dot2c_f32_f16 v19, v98, v96
	v_dot2c_f32_f16 v18, v98, v97
	v_dot2c_f32_f16 v56, v99, v94
	v_dot2c_f32_f16 v54, v99, v95
	v_dot2c_f32_f16 v21, v99, v96
	v_dot2c_f32_f16 v20, v99, v97
	v_dot2c_f32_f16 v48, v100, v94
	v_dot2c_f32_f16 v47, v100, v95
	v_dot2c_f32_f16 v27, v100, v96
	v_dot2c_f32_f16 v26, v100, v97
	v_dot2c_f32_f16 v55, v101, v94
	v_dot2c_f32_f16 v53, v101, v95
	ds_read_b128 v[90:93], v81 offset:19712
	v_dot2c_f32_f16 v28, v101, v96
	v_dot2c_f32_f16 v29, v101, v97
	ds_read_b128 v[94:97], v80 offset:3328
	s_waitcnt lgkmcnt(2)
	v_dot2c_f32_f16 v79, v86, v102
	v_dot2c_f32_f16 v78, v86, v103
	v_dot2c_f32_f16 v52, v86, v104
	v_dot2c_f32_f16 v51, v86, v105
	v_dot2c_f32_f16 v75, v87, v102
	v_dot2c_f32_f16 v74, v87, v103
	v_dot2c_f32_f16 v41, v87, v104
	v_dot2c_f32_f16 v40, v87, v105
	v_dot2c_f32_f16 v71, v88, v102
	v_dot2c_f32_f16 v70, v88, v103
	v_dot2c_f32_f16 v39, v88, v104
	v_dot2c_f32_f16 v38, v88, v105
	v_dot2c_f32_f16 v67, v89, v102
	v_dot2c_f32_f16 v66, v89, v103
	v_dot2c_f32_f16 v33, v89, v104
	v_dot2c_f32_f16 v32, v89, v105
	s_waitcnt lgkmcnt(1)
	v_dot2c_f32_f16 v77, v86, v90
	v_dot2c_f32_f16 v76, v86, v91
	;; [unrolled: 1-line block ×16, first 2 shown]
	ds_read_b128 v[86:89], v80 offset:3584
	s_waitcnt lgkmcnt(1)
	v_dot2c_f32_f16 v63, v94, v102
	v_dot2c_f32_f16 v62, v94, v103
	;; [unrolled: 1-line block ×15, first 2 shown]
	ds_read_b128 v[98:101], v81 offset:19968
	v_dot2c_f32_f16 v31, v97, v105
	v_dot2c_f32_f16 v61, v94, v90
	;; [unrolled: 1-line block ×15, first 2 shown]
	ds_read_b128 v[102:105], v81 offset:20224
	v_dot2c_f32_f16 v28, v97, v92
	v_dot2c_f32_f16 v29, v97, v93
	ds_read_b128 v[90:93], v80 offset:3840
	s_waitcnt lgkmcnt(2)
	v_dot2c_f32_f16 v79, v86, v98
	v_dot2c_f32_f16 v78, v86, v99
	;; [unrolled: 1-line block ×16, first 2 shown]
	s_waitcnt lgkmcnt(1)
	v_dot2c_f32_f16 v77, v86, v102
	v_dot2c_f32_f16 v76, v86, v103
	;; [unrolled: 1-line block ×16, first 2 shown]
	ds_read_b128 v[86:89], v80 offset:4096
	s_waitcnt lgkmcnt(1)
	v_dot2c_f32_f16 v63, v90, v98
	v_dot2c_f32_f16 v62, v90, v99
	;; [unrolled: 1-line block ×15, first 2 shown]
	ds_read_b128 v[94:97], v81 offset:20480
	v_dot2c_f32_f16 v31, v93, v101
	v_dot2c_f32_f16 v61, v90, v102
	;; [unrolled: 1-line block ×15, first 2 shown]
	ds_read_b128 v[98:101], v81 offset:20736
	v_dot2c_f32_f16 v28, v93, v104
	v_dot2c_f32_f16 v29, v93, v105
	ds_read_b128 v[90:93], v80 offset:4352
	s_waitcnt lgkmcnt(2)
	v_dot2c_f32_f16 v79, v86, v94
	v_dot2c_f32_f16 v78, v86, v95
	;; [unrolled: 1-line block ×16, first 2 shown]
	s_waitcnt lgkmcnt(1)
	v_dot2c_f32_f16 v77, v86, v98
	v_dot2c_f32_f16 v76, v86, v99
	;; [unrolled: 1-line block ×16, first 2 shown]
	ds_read_b128 v[86:89], v80 offset:4608
	s_waitcnt lgkmcnt(1)
	v_dot2c_f32_f16 v63, v90, v94
	v_dot2c_f32_f16 v62, v90, v95
	;; [unrolled: 1-line block ×15, first 2 shown]
	ds_read_b128 v[102:105], v81 offset:20992
	v_dot2c_f32_f16 v31, v93, v97
	v_dot2c_f32_f16 v61, v90, v98
	;; [unrolled: 1-line block ×15, first 2 shown]
	ds_read_b128 v[94:97], v81 offset:21248
	v_dot2c_f32_f16 v28, v93, v100
	v_dot2c_f32_f16 v29, v93, v101
	ds_read_b128 v[90:93], v80 offset:4864
	s_waitcnt lgkmcnt(2)
	v_dot2c_f32_f16 v79, v86, v102
	v_dot2c_f32_f16 v78, v86, v103
	v_dot2c_f32_f16 v52, v86, v104
	v_dot2c_f32_f16 v51, v86, v105
	v_dot2c_f32_f16 v75, v87, v102
	v_dot2c_f32_f16 v74, v87, v103
	v_dot2c_f32_f16 v41, v87, v104
	v_dot2c_f32_f16 v40, v87, v105
	v_dot2c_f32_f16 v71, v88, v102
	v_dot2c_f32_f16 v70, v88, v103
	v_dot2c_f32_f16 v39, v88, v104
	v_dot2c_f32_f16 v38, v88, v105
	v_dot2c_f32_f16 v67, v89, v102
	v_dot2c_f32_f16 v66, v89, v103
	v_dot2c_f32_f16 v33, v89, v104
	v_dot2c_f32_f16 v32, v89, v105
	s_waitcnt lgkmcnt(1)
	v_dot2c_f32_f16 v77, v86, v94
	v_dot2c_f32_f16 v76, v86, v95
	;; [unrolled: 1-line block ×16, first 2 shown]
	ds_read_b128 v[86:89], v80 offset:5120
	s_waitcnt lgkmcnt(1)
	v_dot2c_f32_f16 v63, v90, v102
	v_dot2c_f32_f16 v62, v90, v103
	;; [unrolled: 1-line block ×15, first 2 shown]
	ds_read_b128 v[98:101], v81 offset:21504
	v_dot2c_f32_f16 v31, v93, v105
	v_dot2c_f32_f16 v61, v90, v94
	;; [unrolled: 1-line block ×15, first 2 shown]
	ds_read_b128 v[102:105], v81 offset:21760
	v_dot2c_f32_f16 v28, v93, v96
	v_dot2c_f32_f16 v29, v93, v97
	ds_read_b128 v[90:93], v80 offset:5376
	s_waitcnt lgkmcnt(2)
	v_dot2c_f32_f16 v79, v86, v98
	v_dot2c_f32_f16 v78, v86, v99
	v_dot2c_f32_f16 v52, v86, v100
	v_dot2c_f32_f16 v51, v86, v101
	v_dot2c_f32_f16 v75, v87, v98
	v_dot2c_f32_f16 v74, v87, v99
	v_dot2c_f32_f16 v41, v87, v100
	v_dot2c_f32_f16 v40, v87, v101
	v_dot2c_f32_f16 v71, v88, v98
	v_dot2c_f32_f16 v70, v88, v99
	v_dot2c_f32_f16 v39, v88, v100
	v_dot2c_f32_f16 v38, v88, v101
	v_dot2c_f32_f16 v67, v89, v98
	v_dot2c_f32_f16 v66, v89, v99
	v_dot2c_f32_f16 v33, v89, v100
	v_dot2c_f32_f16 v32, v89, v101
	s_waitcnt lgkmcnt(1)
	v_dot2c_f32_f16 v77, v86, v102
	v_dot2c_f32_f16 v76, v86, v103
	;; [unrolled: 1-line block ×16, first 2 shown]
	ds_read_b128 v[86:89], v80 offset:5632
	s_waitcnt lgkmcnt(1)
	v_dot2c_f32_f16 v63, v90, v98
	v_dot2c_f32_f16 v62, v90, v99
	;; [unrolled: 1-line block ×15, first 2 shown]
	ds_read_b128 v[94:97], v81 offset:22016
	v_dot2c_f32_f16 v31, v93, v101
	v_dot2c_f32_f16 v61, v90, v102
	;; [unrolled: 1-line block ×15, first 2 shown]
	ds_read_b128 v[98:101], v81 offset:22272
	v_dot2c_f32_f16 v28, v93, v104
	v_dot2c_f32_f16 v29, v93, v105
	ds_read_b128 v[90:93], v80 offset:5888
	s_waitcnt lgkmcnt(2)
	v_dot2c_f32_f16 v79, v86, v94
	v_dot2c_f32_f16 v78, v86, v95
	;; [unrolled: 1-line block ×16, first 2 shown]
	s_waitcnt lgkmcnt(1)
	v_dot2c_f32_f16 v77, v86, v98
	v_dot2c_f32_f16 v76, v86, v99
	;; [unrolled: 1-line block ×16, first 2 shown]
	ds_read_b128 v[86:89], v80 offset:6144
	s_waitcnt lgkmcnt(1)
	v_dot2c_f32_f16 v63, v90, v94
	v_dot2c_f32_f16 v62, v90, v95
	;; [unrolled: 1-line block ×15, first 2 shown]
	ds_read_b128 v[102:105], v81 offset:22528
	v_dot2c_f32_f16 v31, v93, v97
	v_dot2c_f32_f16 v61, v90, v98
	;; [unrolled: 1-line block ×15, first 2 shown]
	ds_read_b128 v[94:97], v81 offset:22784
	v_dot2c_f32_f16 v28, v93, v100
	v_dot2c_f32_f16 v29, v93, v101
	ds_read_b128 v[90:93], v80 offset:6400
	s_waitcnt lgkmcnt(2)
	v_dot2c_f32_f16 v79, v86, v102
	v_dot2c_f32_f16 v78, v86, v103
	;; [unrolled: 1-line block ×16, first 2 shown]
	s_waitcnt lgkmcnt(1)
	v_dot2c_f32_f16 v77, v86, v94
	v_dot2c_f32_f16 v76, v86, v95
	;; [unrolled: 1-line block ×16, first 2 shown]
	ds_read_b128 v[86:89], v80 offset:6656
	s_waitcnt lgkmcnt(1)
	v_dot2c_f32_f16 v63, v90, v102
	v_dot2c_f32_f16 v62, v90, v103
	;; [unrolled: 1-line block ×15, first 2 shown]
	ds_read_b128 v[98:101], v81 offset:23040
	v_dot2c_f32_f16 v31, v93, v105
	v_dot2c_f32_f16 v61, v90, v94
	;; [unrolled: 1-line block ×15, first 2 shown]
	ds_read_b128 v[102:105], v81 offset:23296
	v_dot2c_f32_f16 v28, v93, v96
	v_dot2c_f32_f16 v29, v93, v97
	ds_read_b128 v[90:93], v80 offset:6912
	s_waitcnt lgkmcnt(2)
	v_dot2c_f32_f16 v79, v86, v98
	v_dot2c_f32_f16 v78, v86, v99
	;; [unrolled: 1-line block ×16, first 2 shown]
	s_waitcnt lgkmcnt(1)
	v_dot2c_f32_f16 v77, v86, v102
	v_dot2c_f32_f16 v76, v86, v103
	;; [unrolled: 1-line block ×16, first 2 shown]
	ds_read_b128 v[86:89], v80 offset:7168
	s_waitcnt lgkmcnt(1)
	v_dot2c_f32_f16 v63, v90, v98
	v_dot2c_f32_f16 v62, v90, v99
	;; [unrolled: 1-line block ×15, first 2 shown]
	ds_read_b128 v[94:97], v81 offset:23552
	v_dot2c_f32_f16 v31, v93, v101
	v_dot2c_f32_f16 v61, v90, v102
	;; [unrolled: 1-line block ×15, first 2 shown]
	ds_read_b128 v[98:101], v81 offset:23808
	v_dot2c_f32_f16 v28, v93, v104
	v_dot2c_f32_f16 v29, v93, v105
	ds_read_b128 v[90:93], v80 offset:7424
	v_cmp_gt_i32_e64 s6, s20, v85
	v_cmp_le_i32_e64 s8, s47, v85
	s_and_b32 s1, s5, s1
	s_waitcnt lgkmcnt(2)
	v_dot2c_f32_f16 v79, v86, v94
	s_and_b32 s5, s1, s7
	s_and_b32 s3, s6, s3
	;; [unrolled: 1-line block ×5, first 2 shown]
	s_waitcnt vmcnt(3)
	v_cndmask_b32_e64 v85, 0, v0, s1
	s_waitcnt vmcnt(2)
	v_cndmask_b32_e64 v0, 0, v7, s0
	v_cndmask_b32_e64 v6, 0, v6, s0
	;; [unrolled: 1-line block ×4, first 2 shown]
	s_and_b32 s0, vcc_lo, s5
	s_and_b32 vcc_lo, vcc_lo, s3
	s_waitcnt vmcnt(1)
	v_cndmask_b32_e64 v7, 0, v11, s0
	v_cndmask_b32_e64 v9, 0, v9, s0
	v_cndmask_b32_e64 v11, 0, v8, s0
	v_dot2c_f32_f16 v78, v86, v95
	v_dot2c_f32_f16 v52, v86, v96
	;; [unrolled: 1-line block ×15, first 2 shown]
	s_waitcnt lgkmcnt(1)
	v_dot2c_f32_f16 v77, v86, v98
	v_dot2c_f32_f16 v76, v86, v99
	;; [unrolled: 1-line block ×16, first 2 shown]
	ds_read_b128 v[86:89], v80 offset:7680
	s_waitcnt lgkmcnt(1)
	v_dot2c_f32_f16 v63, v90, v94
	v_dot2c_f32_f16 v62, v90, v95
	;; [unrolled: 1-line block ×15, first 2 shown]
	ds_read_b128 v[102:105], v81 offset:24064
	v_dot2c_f32_f16 v31, v93, v97
	v_dot2c_f32_f16 v61, v90, v98
	;; [unrolled: 1-line block ×15, first 2 shown]
	ds_read_b128 v[94:97], v81 offset:24320
	v_dot2c_f32_f16 v28, v93, v100
	v_dot2c_f32_f16 v29, v93, v101
	ds_read_b128 v[90:93], v80 offset:7936
	v_cndmask_b32_e64 v10, 0, v10, s0
	s_waitcnt vmcnt(0)
	v_cndmask_b32_e32 v13, 0, v13, vcc_lo
	v_cndmask_b32_e32 v12, 0, v12, vcc_lo
	;; [unrolled: 1-line block ×4, first 2 shown]
	v_cndmask_b32_e64 v3, 0, v3, s1
	v_cndmask_b32_e64 v2, 0, v2, s1
	;; [unrolled: 1-line block ×3, first 2 shown]
	ds_write2st64_b32 v84, v11, v9 offset0:32 offset1:34
	ds_write2st64_b32 v84, v10, v7 offset0:36 offset1:38
	;; [unrolled: 1-line block ×8, first 2 shown]
	s_waitcnt lgkmcnt(0)
	s_barrier
	ds_read_b128 v[0:3], v80 offset:8192
	ds_read_b128 v[4:7], v81 offset:24576
	;; [unrolled: 1-line block ×4, first 2 shown]
	v_dot2c_f32_f16 v79, v86, v102
	v_dot2c_f32_f16 v78, v86, v103
	;; [unrolled: 1-line block ×64, first 2 shown]
	s_waitcnt lgkmcnt(2)
	v_dot2c_f32_f16 v79, v0, v4
	v_dot2c_f32_f16 v78, v0, v5
	;; [unrolled: 1-line block ×16, first 2 shown]
	ds_read_b128 v[84:87], v81 offset:25088
	s_waitcnt lgkmcnt(2)
	v_dot2c_f32_f16 v77, v0, v8
	v_dot2c_f32_f16 v76, v0, v9
	;; [unrolled: 1-line block ×16, first 2 shown]
	ds_read_b128 v[0:3], v80 offset:8704
	s_waitcnt lgkmcnt(2)
	v_dot2c_f32_f16 v63, v12, v4
	v_dot2c_f32_f16 v62, v12, v5
	;; [unrolled: 1-line block ×30, first 2 shown]
	ds_read_b128 v[4:7], v81 offset:25344
	v_dot2c_f32_f16 v28, v15, v10
	v_dot2c_f32_f16 v29, v15, v11
	ds_read_b128 v[8:11], v80 offset:8960
	s_waitcnt lgkmcnt(2)
	v_dot2c_f32_f16 v79, v0, v84
	v_dot2c_f32_f16 v78, v0, v85
	v_dot2c_f32_f16 v52, v0, v86
	v_dot2c_f32_f16 v51, v0, v87
	v_dot2c_f32_f16 v75, v1, v84
	v_dot2c_f32_f16 v74, v1, v85
	v_dot2c_f32_f16 v41, v1, v86
	v_dot2c_f32_f16 v40, v1, v87
	v_dot2c_f32_f16 v71, v2, v84
	v_dot2c_f32_f16 v70, v2, v85
	v_dot2c_f32_f16 v39, v2, v86
	v_dot2c_f32_f16 v38, v2, v87
	v_dot2c_f32_f16 v67, v3, v84
	v_dot2c_f32_f16 v66, v3, v85
	v_dot2c_f32_f16 v33, v3, v86
	v_dot2c_f32_f16 v32, v3, v87
	ds_read_b128 v[12:15], v81 offset:25600
	s_waitcnt lgkmcnt(2)
	v_dot2c_f32_f16 v77, v0, v4
	v_dot2c_f32_f16 v76, v0, v5
	v_dot2c_f32_f16 v45, v0, v6
	v_dot2c_f32_f16 v44, v0, v7
	v_dot2c_f32_f16 v73, v1, v4
	v_dot2c_f32_f16 v72, v1, v5
	v_dot2c_f32_f16 v42, v1, v6
	v_dot2c_f32_f16 v43, v1, v7
	v_dot2c_f32_f16 v69, v2, v4
	v_dot2c_f32_f16 v68, v2, v5
	v_dot2c_f32_f16 v36, v2, v6
	v_dot2c_f32_f16 v37, v2, v7
	v_dot2c_f32_f16 v65, v3, v4
	v_dot2c_f32_f16 v64, v3, v5
	;; [unrolled: 18-line block ×3, first 2 shown]
	v_dot2c_f32_f16 v30, v11, v86
	v_dot2c_f32_f16 v31, v11, v87
	;; [unrolled: 1-line block ×16, first 2 shown]
	ds_read_b128 v[84:87], v81 offset:25856
	v_dot2c_f32_f16 v28, v11, v6
	v_dot2c_f32_f16 v29, v11, v7
	ds_read_b128 v[4:7], v80 offset:9472
	s_waitcnt lgkmcnt(2)
	v_dot2c_f32_f16 v79, v0, v12
	v_dot2c_f32_f16 v78, v0, v13
	v_dot2c_f32_f16 v52, v0, v14
	v_dot2c_f32_f16 v51, v0, v15
	v_dot2c_f32_f16 v75, v1, v12
	v_dot2c_f32_f16 v74, v1, v13
	v_dot2c_f32_f16 v41, v1, v14
	v_dot2c_f32_f16 v40, v1, v15
	v_dot2c_f32_f16 v71, v2, v12
	v_dot2c_f32_f16 v70, v2, v13
	v_dot2c_f32_f16 v39, v2, v14
	v_dot2c_f32_f16 v38, v2, v15
	v_dot2c_f32_f16 v67, v3, v12
	v_dot2c_f32_f16 v66, v3, v13
	v_dot2c_f32_f16 v33, v3, v14
	v_dot2c_f32_f16 v32, v3, v15
	ds_read_b128 v[8:11], v81 offset:26112
	s_waitcnt lgkmcnt(2)
	v_dot2c_f32_f16 v77, v0, v84
	v_dot2c_f32_f16 v76, v0, v85
	v_dot2c_f32_f16 v45, v0, v86
	v_dot2c_f32_f16 v44, v0, v87
	v_dot2c_f32_f16 v73, v1, v84
	v_dot2c_f32_f16 v72, v1, v85
	v_dot2c_f32_f16 v42, v1, v86
	v_dot2c_f32_f16 v43, v1, v87
	v_dot2c_f32_f16 v69, v2, v84
	v_dot2c_f32_f16 v68, v2, v85
	v_dot2c_f32_f16 v36, v2, v86
	v_dot2c_f32_f16 v37, v2, v87
	v_dot2c_f32_f16 v65, v3, v84
	v_dot2c_f32_f16 v64, v3, v85
	;; [unrolled: 18-line block ×3, first 2 shown]
	v_dot2c_f32_f16 v30, v7, v14
	v_dot2c_f32_f16 v31, v7, v15
	;; [unrolled: 1-line block ×16, first 2 shown]
	ds_read_b128 v[12:15], v81 offset:26368
	v_dot2c_f32_f16 v28, v7, v86
	v_dot2c_f32_f16 v29, v7, v87
	ds_read_b128 v[4:7], v80 offset:9984
	s_waitcnt lgkmcnt(2)
	v_dot2c_f32_f16 v79, v0, v8
	v_dot2c_f32_f16 v78, v0, v9
	v_dot2c_f32_f16 v52, v0, v10
	v_dot2c_f32_f16 v51, v0, v11
	v_dot2c_f32_f16 v75, v1, v8
	v_dot2c_f32_f16 v74, v1, v9
	v_dot2c_f32_f16 v41, v1, v10
	v_dot2c_f32_f16 v40, v1, v11
	v_dot2c_f32_f16 v71, v2, v8
	v_dot2c_f32_f16 v70, v2, v9
	v_dot2c_f32_f16 v39, v2, v10
	v_dot2c_f32_f16 v38, v2, v11
	v_dot2c_f32_f16 v67, v3, v8
	v_dot2c_f32_f16 v66, v3, v9
	v_dot2c_f32_f16 v33, v3, v10
	v_dot2c_f32_f16 v32, v3, v11
	ds_read_b128 v[84:87], v81 offset:26624
	s_waitcnt lgkmcnt(2)
	v_dot2c_f32_f16 v77, v0, v12
	v_dot2c_f32_f16 v76, v0, v13
	v_dot2c_f32_f16 v45, v0, v14
	v_dot2c_f32_f16 v44, v0, v15
	v_dot2c_f32_f16 v73, v1, v12
	v_dot2c_f32_f16 v72, v1, v13
	v_dot2c_f32_f16 v42, v1, v14
	v_dot2c_f32_f16 v43, v1, v15
	v_dot2c_f32_f16 v69, v2, v12
	v_dot2c_f32_f16 v68, v2, v13
	v_dot2c_f32_f16 v36, v2, v14
	v_dot2c_f32_f16 v37, v2, v15
	v_dot2c_f32_f16 v65, v3, v12
	v_dot2c_f32_f16 v64, v3, v13
	;; [unrolled: 18-line block ×3, first 2 shown]
	v_dot2c_f32_f16 v30, v7, v10
	v_dot2c_f32_f16 v31, v7, v11
	;; [unrolled: 1-line block ×16, first 2 shown]
	ds_read_b128 v[8:11], v81 offset:26880
	v_dot2c_f32_f16 v28, v7, v14
	v_dot2c_f32_f16 v29, v7, v15
	ds_read_b128 v[4:7], v80 offset:10496
	s_waitcnt lgkmcnt(2)
	v_dot2c_f32_f16 v79, v0, v84
	v_dot2c_f32_f16 v78, v0, v85
	v_dot2c_f32_f16 v52, v0, v86
	v_dot2c_f32_f16 v51, v0, v87
	v_dot2c_f32_f16 v75, v1, v84
	v_dot2c_f32_f16 v74, v1, v85
	v_dot2c_f32_f16 v41, v1, v86
	v_dot2c_f32_f16 v40, v1, v87
	v_dot2c_f32_f16 v71, v2, v84
	v_dot2c_f32_f16 v70, v2, v85
	v_dot2c_f32_f16 v39, v2, v86
	v_dot2c_f32_f16 v38, v2, v87
	v_dot2c_f32_f16 v67, v3, v84
	v_dot2c_f32_f16 v66, v3, v85
	v_dot2c_f32_f16 v33, v3, v86
	v_dot2c_f32_f16 v32, v3, v87
	ds_read_b128 v[12:15], v81 offset:27136
	s_waitcnt lgkmcnt(2)
	v_dot2c_f32_f16 v77, v0, v8
	v_dot2c_f32_f16 v76, v0, v9
	v_dot2c_f32_f16 v45, v0, v10
	v_dot2c_f32_f16 v44, v0, v11
	v_dot2c_f32_f16 v73, v1, v8
	v_dot2c_f32_f16 v72, v1, v9
	v_dot2c_f32_f16 v42, v1, v10
	v_dot2c_f32_f16 v43, v1, v11
	v_dot2c_f32_f16 v69, v2, v8
	v_dot2c_f32_f16 v68, v2, v9
	v_dot2c_f32_f16 v36, v2, v10
	v_dot2c_f32_f16 v37, v2, v11
	v_dot2c_f32_f16 v65, v3, v8
	v_dot2c_f32_f16 v64, v3, v9
	;; [unrolled: 18-line block ×3, first 2 shown]
	v_dot2c_f32_f16 v30, v7, v86
	v_dot2c_f32_f16 v31, v7, v87
	;; [unrolled: 1-line block ×16, first 2 shown]
	ds_read_b128 v[84:87], v81 offset:27392
	v_dot2c_f32_f16 v28, v7, v10
	v_dot2c_f32_f16 v29, v7, v11
	ds_read_b128 v[4:7], v80 offset:11008
	s_waitcnt lgkmcnt(2)
	v_dot2c_f32_f16 v79, v0, v12
	v_dot2c_f32_f16 v78, v0, v13
	v_dot2c_f32_f16 v52, v0, v14
	v_dot2c_f32_f16 v51, v0, v15
	v_dot2c_f32_f16 v75, v1, v12
	v_dot2c_f32_f16 v74, v1, v13
	v_dot2c_f32_f16 v41, v1, v14
	v_dot2c_f32_f16 v40, v1, v15
	v_dot2c_f32_f16 v71, v2, v12
	v_dot2c_f32_f16 v70, v2, v13
	v_dot2c_f32_f16 v39, v2, v14
	v_dot2c_f32_f16 v38, v2, v15
	v_dot2c_f32_f16 v67, v3, v12
	v_dot2c_f32_f16 v66, v3, v13
	v_dot2c_f32_f16 v33, v3, v14
	v_dot2c_f32_f16 v32, v3, v15
	ds_read_b128 v[8:11], v81 offset:27648
	s_waitcnt lgkmcnt(2)
	v_dot2c_f32_f16 v77, v0, v84
	v_dot2c_f32_f16 v76, v0, v85
	v_dot2c_f32_f16 v45, v0, v86
	v_dot2c_f32_f16 v44, v0, v87
	v_dot2c_f32_f16 v73, v1, v84
	v_dot2c_f32_f16 v72, v1, v85
	v_dot2c_f32_f16 v42, v1, v86
	v_dot2c_f32_f16 v43, v1, v87
	v_dot2c_f32_f16 v69, v2, v84
	v_dot2c_f32_f16 v68, v2, v85
	v_dot2c_f32_f16 v36, v2, v86
	v_dot2c_f32_f16 v37, v2, v87
	v_dot2c_f32_f16 v65, v3, v84
	v_dot2c_f32_f16 v64, v3, v85
	;; [unrolled: 18-line block ×3, first 2 shown]
	v_dot2c_f32_f16 v30, v7, v14
	v_dot2c_f32_f16 v31, v7, v15
	v_dot2c_f32_f16 v61, v4, v84
	v_dot2c_f32_f16 v60, v4, v85
	v_dot2c_f32_f16 v19, v4, v86
	v_dot2c_f32_f16 v18, v4, v87
	v_dot2c_f32_f16 v56, v5, v84
	v_dot2c_f32_f16 v54, v5, v85
	v_dot2c_f32_f16 v21, v5, v86
	v_dot2c_f32_f16 v20, v5, v87
	v_dot2c_f32_f16 v48, v6, v84
	v_dot2c_f32_f16 v47, v6, v85
	v_dot2c_f32_f16 v27, v6, v86
	v_dot2c_f32_f16 v26, v6, v87
	v_dot2c_f32_f16 v55, v7, v84
	v_dot2c_f32_f16 v53, v7, v85
	ds_read_b128 v[12:15], v81 offset:27904
	v_dot2c_f32_f16 v28, v7, v86
	v_dot2c_f32_f16 v29, v7, v87
	ds_read_b128 v[4:7], v80 offset:11520
	s_waitcnt lgkmcnt(2)
	v_dot2c_f32_f16 v79, v0, v8
	v_dot2c_f32_f16 v78, v0, v9
	v_dot2c_f32_f16 v52, v0, v10
	v_dot2c_f32_f16 v51, v0, v11
	v_dot2c_f32_f16 v75, v1, v8
	v_dot2c_f32_f16 v74, v1, v9
	v_dot2c_f32_f16 v41, v1, v10
	v_dot2c_f32_f16 v40, v1, v11
	v_dot2c_f32_f16 v71, v2, v8
	v_dot2c_f32_f16 v70, v2, v9
	v_dot2c_f32_f16 v39, v2, v10
	v_dot2c_f32_f16 v38, v2, v11
	v_dot2c_f32_f16 v67, v3, v8
	v_dot2c_f32_f16 v66, v3, v9
	v_dot2c_f32_f16 v33, v3, v10
	v_dot2c_f32_f16 v32, v3, v11
	ds_read_b128 v[84:87], v81 offset:28160
	s_waitcnt lgkmcnt(2)
	v_dot2c_f32_f16 v77, v0, v12
	v_dot2c_f32_f16 v76, v0, v13
	v_dot2c_f32_f16 v45, v0, v14
	v_dot2c_f32_f16 v44, v0, v15
	v_dot2c_f32_f16 v73, v1, v12
	v_dot2c_f32_f16 v72, v1, v13
	v_dot2c_f32_f16 v42, v1, v14
	v_dot2c_f32_f16 v43, v1, v15
	v_dot2c_f32_f16 v69, v2, v12
	v_dot2c_f32_f16 v68, v2, v13
	v_dot2c_f32_f16 v36, v2, v14
	v_dot2c_f32_f16 v37, v2, v15
	v_dot2c_f32_f16 v65, v3, v12
	v_dot2c_f32_f16 v64, v3, v13
	;; [unrolled: 18-line block ×3, first 2 shown]
	v_dot2c_f32_f16 v30, v7, v10
	v_dot2c_f32_f16 v31, v7, v11
	;; [unrolled: 1-line block ×16, first 2 shown]
	ds_read_b128 v[8:11], v81 offset:28416
	v_dot2c_f32_f16 v28, v7, v14
	v_dot2c_f32_f16 v29, v7, v15
	ds_read_b128 v[4:7], v80 offset:12032
	s_waitcnt lgkmcnt(2)
	v_dot2c_f32_f16 v79, v0, v84
	v_dot2c_f32_f16 v78, v0, v85
	v_dot2c_f32_f16 v52, v0, v86
	v_dot2c_f32_f16 v51, v0, v87
	v_dot2c_f32_f16 v75, v1, v84
	v_dot2c_f32_f16 v74, v1, v85
	v_dot2c_f32_f16 v41, v1, v86
	v_dot2c_f32_f16 v40, v1, v87
	v_dot2c_f32_f16 v71, v2, v84
	v_dot2c_f32_f16 v70, v2, v85
	v_dot2c_f32_f16 v39, v2, v86
	v_dot2c_f32_f16 v38, v2, v87
	v_dot2c_f32_f16 v67, v3, v84
	v_dot2c_f32_f16 v66, v3, v85
	v_dot2c_f32_f16 v33, v3, v86
	v_dot2c_f32_f16 v32, v3, v87
	ds_read_b128 v[12:15], v81 offset:28672
	s_waitcnt lgkmcnt(2)
	v_dot2c_f32_f16 v77, v0, v8
	v_dot2c_f32_f16 v76, v0, v9
	v_dot2c_f32_f16 v45, v0, v10
	v_dot2c_f32_f16 v44, v0, v11
	v_dot2c_f32_f16 v73, v1, v8
	v_dot2c_f32_f16 v72, v1, v9
	v_dot2c_f32_f16 v42, v1, v10
	v_dot2c_f32_f16 v43, v1, v11
	v_dot2c_f32_f16 v69, v2, v8
	v_dot2c_f32_f16 v68, v2, v9
	v_dot2c_f32_f16 v36, v2, v10
	v_dot2c_f32_f16 v37, v2, v11
	v_dot2c_f32_f16 v65, v3, v8
	v_dot2c_f32_f16 v64, v3, v9
	;; [unrolled: 18-line block ×3, first 2 shown]
	v_dot2c_f32_f16 v30, v7, v86
	v_dot2c_f32_f16 v31, v7, v87
	;; [unrolled: 1-line block ×16, first 2 shown]
	ds_read_b128 v[84:87], v81 offset:28928
	v_dot2c_f32_f16 v28, v7, v10
	v_dot2c_f32_f16 v29, v7, v11
	ds_read_b128 v[4:7], v80 offset:12544
	s_waitcnt lgkmcnt(2)
	v_dot2c_f32_f16 v79, v0, v12
	v_dot2c_f32_f16 v78, v0, v13
	v_dot2c_f32_f16 v52, v0, v14
	v_dot2c_f32_f16 v51, v0, v15
	v_dot2c_f32_f16 v75, v1, v12
	v_dot2c_f32_f16 v74, v1, v13
	v_dot2c_f32_f16 v41, v1, v14
	v_dot2c_f32_f16 v40, v1, v15
	v_dot2c_f32_f16 v71, v2, v12
	v_dot2c_f32_f16 v70, v2, v13
	v_dot2c_f32_f16 v39, v2, v14
	v_dot2c_f32_f16 v38, v2, v15
	v_dot2c_f32_f16 v67, v3, v12
	v_dot2c_f32_f16 v66, v3, v13
	v_dot2c_f32_f16 v33, v3, v14
	v_dot2c_f32_f16 v32, v3, v15
	ds_read_b128 v[8:11], v81 offset:29184
	s_waitcnt lgkmcnt(2)
	v_dot2c_f32_f16 v77, v0, v84
	v_dot2c_f32_f16 v76, v0, v85
	v_dot2c_f32_f16 v45, v0, v86
	v_dot2c_f32_f16 v44, v0, v87
	v_dot2c_f32_f16 v73, v1, v84
	v_dot2c_f32_f16 v72, v1, v85
	v_dot2c_f32_f16 v42, v1, v86
	v_dot2c_f32_f16 v43, v1, v87
	v_dot2c_f32_f16 v69, v2, v84
	v_dot2c_f32_f16 v68, v2, v85
	v_dot2c_f32_f16 v36, v2, v86
	v_dot2c_f32_f16 v37, v2, v87
	v_dot2c_f32_f16 v65, v3, v84
	v_dot2c_f32_f16 v64, v3, v85
	;; [unrolled: 18-line block ×3, first 2 shown]
	v_dot2c_f32_f16 v30, v7, v14
	v_dot2c_f32_f16 v31, v7, v15
	;; [unrolled: 1-line block ×16, first 2 shown]
	ds_read_b128 v[12:15], v81 offset:29440
	v_dot2c_f32_f16 v28, v7, v86
	v_dot2c_f32_f16 v29, v7, v87
	ds_read_b128 v[4:7], v80 offset:13056
	s_waitcnt lgkmcnt(2)
	v_dot2c_f32_f16 v79, v0, v8
	v_dot2c_f32_f16 v78, v0, v9
	v_dot2c_f32_f16 v52, v0, v10
	v_dot2c_f32_f16 v51, v0, v11
	v_dot2c_f32_f16 v75, v1, v8
	v_dot2c_f32_f16 v74, v1, v9
	v_dot2c_f32_f16 v41, v1, v10
	v_dot2c_f32_f16 v40, v1, v11
	v_dot2c_f32_f16 v71, v2, v8
	v_dot2c_f32_f16 v70, v2, v9
	v_dot2c_f32_f16 v39, v2, v10
	v_dot2c_f32_f16 v38, v2, v11
	v_dot2c_f32_f16 v67, v3, v8
	v_dot2c_f32_f16 v66, v3, v9
	v_dot2c_f32_f16 v33, v3, v10
	v_dot2c_f32_f16 v32, v3, v11
	ds_read_b128 v[84:87], v81 offset:29696
	s_waitcnt lgkmcnt(2)
	v_dot2c_f32_f16 v77, v0, v12
	v_dot2c_f32_f16 v76, v0, v13
	v_dot2c_f32_f16 v45, v0, v14
	v_dot2c_f32_f16 v44, v0, v15
	v_dot2c_f32_f16 v73, v1, v12
	v_dot2c_f32_f16 v72, v1, v13
	v_dot2c_f32_f16 v42, v1, v14
	v_dot2c_f32_f16 v43, v1, v15
	v_dot2c_f32_f16 v69, v2, v12
	v_dot2c_f32_f16 v68, v2, v13
	v_dot2c_f32_f16 v36, v2, v14
	v_dot2c_f32_f16 v37, v2, v15
	v_dot2c_f32_f16 v65, v3, v12
	v_dot2c_f32_f16 v64, v3, v13
	;; [unrolled: 18-line block ×3, first 2 shown]
	v_dot2c_f32_f16 v30, v7, v10
	v_dot2c_f32_f16 v31, v7, v11
	ds_read_b128 v[8:11], v81 offset:29952
	ds_read_b128 v[88:91], v80 offset:13568
	v_dot2c_f32_f16 v61, v4, v12
	v_dot2c_f32_f16 v60, v4, v13
	;; [unrolled: 1-line block ×16, first 2 shown]
	v_lshl_or_b32 v83, s46, 7, v83
	s_waitcnt lgkmcnt(2)
	v_dot2c_f32_f16 v79, v0, v84
	v_dot2c_f32_f16 v78, v0, v85
	;; [unrolled: 1-line block ×16, first 2 shown]
	ds_read_b128 v[12:15], v81 offset:30208
	s_waitcnt lgkmcnt(2)
	v_dot2c_f32_f16 v77, v0, v8
	v_dot2c_f32_f16 v76, v0, v9
	;; [unrolled: 1-line block ×16, first 2 shown]
	ds_read_b128 v[0:3], v80 offset:13824
	s_waitcnt lgkmcnt(2)
	v_dot2c_f32_f16 v61, v88, v8
	v_dot2c_f32_f16 v60, v88, v9
	;; [unrolled: 1-line block ×14, first 2 shown]
	ds_read_b128 v[4:7], v81 offset:30464
	v_dot2c_f32_f16 v28, v91, v10
	v_dot2c_f32_f16 v29, v91, v11
	ds_read_b128 v[8:11], v80 offset:14080
	v_dot2c_f32_f16 v63, v88, v84
	v_dot2c_f32_f16 v58, v89, v84
	;; [unrolled: 1-line block ×4, first 2 shown]
	v_mul_lo_u32 v84, v83, s38
	v_lshl_add_u32 v82, s19, 7, v82
	v_dot2c_f32_f16 v62, v88, v85
	v_dot2c_f32_f16 v57, v89, v85
	;; [unrolled: 1-line block ×6, first 2 shown]
	v_mad_u64_u32 v[84:85], null, v82, s39, v[84:85]
	s_waitcnt lgkmcnt(2)
	v_dot2c_f32_f16 v79, v0, v12
	v_dot2c_f32_f16 v78, v0, v13
	;; [unrolled: 1-line block ×16, first 2 shown]
	s_waitcnt lgkmcnt(1)
	v_dot2c_f32_f16 v77, v0, v4
	v_dot2c_f32_f16 v76, v0, v5
	;; [unrolled: 1-line block ×16, first 2 shown]
	ds_read_b128 v[0:3], v80 offset:14336
	s_waitcnt lgkmcnt(1)
	v_dot2c_f32_f16 v63, v8, v12
	v_dot2c_f32_f16 v62, v8, v13
	;; [unrolled: 1-line block ×8, first 2 shown]
	v_lshlrev_b32_e32 v8, 1, v84
	s_lshl_b32 s18, s40, 1
	s_and_b32 s17, s10, 0xffff
	s_mov_b32 s19, 0x31014000
	v_dot2c_f32_f16 v23, v89, v86
	v_dot2c_f32_f16 v22, v89, v87
	buffer_load_dwordx2 v[88:89], v8, s[16:19], 0 offen
	s_lshl_b32 s0, s39, 6
	v_dot2c_f32_f16 v25, v90, v86
	v_add_lshl_u32 v8, v84, s0, 1
	v_dot2c_f32_f16 v24, v90, v87
	v_dot2c_f32_f16 v30, v91, v86
	;; [unrolled: 1-line block ×3, first 2 shown]
	v_add_nc_u32_e32 v84, s38, v84
	buffer_load_dwordx2 v[90:91], v8, s[16:19], 0 offen
	v_dot2c_f32_f16 v58, v9, v12
	v_dot2c_f32_f16 v57, v9, v13
	;; [unrolled: 1-line block ×3, first 2 shown]
	v_lshlrev_b32_e32 v85, 1, v84
	v_dot2c_f32_f16 v22, v9, v15
	v_dot2c_f32_f16 v50, v10, v12
	;; [unrolled: 1-line block ×4, first 2 shown]
	buffer_load_dwordx2 v[92:93], v85, s[16:19], 0 offen
	v_dot2c_f32_f16 v24, v10, v15
	v_dot2c_f32_f16 v46, v11, v12
	;; [unrolled: 1-line block ×5, first 2 shown]
	ds_read_b128 v[12:15], v81 offset:30720
	v_dot2c_f32_f16 v56, v9, v4
	v_dot2c_f32_f16 v54, v9, v5
	;; [unrolled: 1-line block ×12, first 2 shown]
	ds_read_b128 v[4:7], v81 offset:30976
	v_add_lshl_u32 v86, v84, s0, 1
	v_add_nc_u32_e32 v84, s38, v84
	v_cmp_gt_i32_e32 vcc_lo, s33, v82
	s_lshl_b32 s14, s36, 1
	s_and_b32 s13, s9, 0xffff
	buffer_load_dwordx2 v[94:95], v86, s[16:19], 0 offen
	v_lshlrev_b32_e32 v85, 1, v84
	v_add_lshl_u32 v86, v84, s0, 1
	v_add_nc_u32_e32 v84, s38, v84
	s_waitcnt lgkmcnt(1)
	v_dot2c_f32_f16 v79, v0, v12
	v_dot2c_f32_f16 v78, v0, v13
	s_clause 0x1
	buffer_load_dwordx2 v[96:97], v85, s[16:19], 0 offen
	buffer_load_dwordx2 v[98:99], v86, s[16:19], 0 offen
	v_dot2c_f32_f16 v52, v0, v14
	v_dot2c_f32_f16 v51, v0, v15
	v_add_lshl_u32 v85, v84, s0, 1
	v_dot2c_f32_f16 v75, v1, v12
	v_dot2c_f32_f16 v74, v1, v13
	;; [unrolled: 1-line block ×3, first 2 shown]
	s_waitcnt lgkmcnt(0)
	v_dot2c_f32_f16 v77, v0, v4
	v_dot2c_f32_f16 v76, v0, v5
	;; [unrolled: 1-line block ×4, first 2 shown]
	v_lshlrev_b32_e32 v0, 1, v84
	buffer_load_dwordx2 v[102:103], v85, s[16:19], 0 offen
	v_mad_u64_u32 v[84:85], null, s38, 61, v[84:85]
	v_dot2c_f32_f16 v40, v1, v15
	buffer_load_dwordx2 v[100:101], v0, s[16:19], 0 offen
	ds_read_b128 v[8:11], v80 offset:14592
	v_dot2c_f32_f16 v71, v2, v12
	v_dot2c_f32_f16 v70, v2, v13
	;; [unrolled: 1-line block ×3, first 2 shown]
	v_lshlrev_b32_e32 v85, 1, v84
	v_add_lshl_u32 v86, v84, s0, 1
	v_add_nc_u32_e32 v84, s38, v84
	v_dot2c_f32_f16 v38, v2, v15
	v_dot2c_f32_f16 v67, v3, v12
	s_clause 0x1
	buffer_load_dwordx2 v[104:105], v85, s[16:19], 0 offen
	buffer_load_dwordx2 v[106:107], v86, s[16:19], 0 offen
	v_dot2c_f32_f16 v66, v3, v13
	v_dot2c_f32_f16 v33, v3, v14
	;; [unrolled: 1-line block ×15, first 2 shown]
	ds_read_b128 v[0:3], v80 offset:14848
	s_waitcnt lgkmcnt(1)
	v_dot2c_f32_f16 v63, v8, v12
	v_dot2c_f32_f16 v62, v8, v13
	;; [unrolled: 1-line block ×16, first 2 shown]
	v_lshlrev_b32_e32 v8, 1, v84
	v_add_lshl_u32 v9, v84, s0, 1
	v_dot2c_f32_f16 v50, v10, v12
	v_dot2c_f32_f16 v49, v10, v13
	;; [unrolled: 1-line block ×8, first 2 shown]
	ds_read_b128 v[12:15], v81 offset:31232
	v_dot2c_f32_f16 v48, v10, v4
	v_dot2c_f32_f16 v47, v10, v5
	;; [unrolled: 1-line block ×5, first 2 shown]
	s_clause 0x1
	buffer_load_dwordx2 v[108:109], v8, s[16:19], 0 offen
	buffer_load_dwordx2 v[110:111], v9, s[16:19], 0 offen
	v_dot2c_f32_f16 v53, v11, v5
	v_dot2c_f32_f16 v28, v11, v6
	;; [unrolled: 1-line block ×3, first 2 shown]
	ds_read_b128 v[4:7], v81 offset:31488
	ds_read_b128 v[8:11], v80 offset:15104
	v_add_nc_u32_e32 v84, s38, v84
	s_mov_b32 s15, s19
	v_lshlrev_b32_e32 v85, 1, v84
	s_waitcnt lgkmcnt(2)
	v_dot2c_f32_f16 v79, v0, v12
	v_dot2c_f32_f16 v78, v0, v13
	buffer_load_dwordx2 v[112:113], v85, s[16:19], 0 offen
	v_add_lshl_u32 v85, v84, s0, 1
	v_add_nc_u32_e32 v84, s38, v84
	v_dot2c_f32_f16 v52, v0, v14
	v_dot2c_f32_f16 v51, v0, v15
	;; [unrolled: 1-line block ×3, first 2 shown]
	buffer_load_dwordx2 v[114:115], v85, s[16:19], 0 offen
	v_dot2c_f32_f16 v74, v1, v13
	s_waitcnt lgkmcnt(1)
	v_dot2c_f32_f16 v77, v0, v4
	v_dot2c_f32_f16 v76, v0, v5
	;; [unrolled: 1-line block ×4, first 2 shown]
	v_add_lshl_u32 v0, v84, s0, 1
	v_dot2c_f32_f16 v41, v1, v14
	v_dot2c_f32_f16 v40, v1, v15
	;; [unrolled: 1-line block ×4, first 2 shown]
	buffer_load_dwordx2 v[118:119], v0, s[16:19], 0 offen
	v_lshlrev_b32_e32 v85, 1, v84
	v_dot2c_f32_f16 v39, v2, v14
	v_dot2c_f32_f16 v38, v2, v15
	;; [unrolled: 1-line block ×4, first 2 shown]
	buffer_load_dwordx2 v[116:117], v85, s[16:19], 0 offen
	v_dot2c_f32_f16 v33, v3, v14
	v_dot2c_f32_f16 v32, v3, v15
	;; [unrolled: 1-line block ×14, first 2 shown]
	ds_read_b128 v[0:3], v80 offset:15360
	s_waitcnt lgkmcnt(1)
	v_dot2c_f32_f16 v63, v8, v12
	v_dot2c_f32_f16 v62, v8, v13
	;; [unrolled: 1-line block ×15, first 2 shown]
	ds_read_b128 v[84:87], v81 offset:31744
	v_dot2c_f32_f16 v31, v11, v15
	v_dot2c_f32_f16 v61, v8, v4
	;; [unrolled: 1-line block ×15, first 2 shown]
	ds_read_b128 v[12:15], v81 offset:32000
	v_dot2c_f32_f16 v28, v11, v6
	v_dot2c_f32_f16 v29, v11, v7
	ds_read_b128 v[4:7], v80 offset:15616
	s_waitcnt lgkmcnt(2)
	v_dot2c_f32_f16 v79, v0, v84
	v_dot2c_f32_f16 v78, v0, v85
	;; [unrolled: 1-line block ×16, first 2 shown]
	s_waitcnt lgkmcnt(1)
	v_dot2c_f32_f16 v77, v0, v12
	v_dot2c_f32_f16 v76, v0, v13
	;; [unrolled: 1-line block ×16, first 2 shown]
	ds_read_b128 v[0:3], v80 offset:15872
	s_waitcnt lgkmcnt(1)
	v_dot2c_f32_f16 v63, v4, v84
	v_dot2c_f32_f16 v62, v4, v85
	;; [unrolled: 1-line block ×15, first 2 shown]
	ds_read_b128 v[8:11], v81 offset:32256
	v_dot2c_f32_f16 v31, v7, v87
	v_dot2c_f32_f16 v61, v4, v12
	v_dot2c_f32_f16 v60, v4, v13
	v_dot2c_f32_f16 v19, v4, v14
	v_dot2c_f32_f16 v18, v4, v15
	v_dot2c_f32_f16 v56, v5, v12
	v_dot2c_f32_f16 v54, v5, v13
	v_dot2c_f32_f16 v21, v5, v14
	v_dot2c_f32_f16 v20, v5, v15
	v_dot2c_f32_f16 v48, v6, v12
	v_dot2c_f32_f16 v47, v6, v13
	v_dot2c_f32_f16 v27, v6, v14
	v_dot2c_f32_f16 v26, v6, v15
	v_dot2c_f32_f16 v55, v7, v12
	v_dot2c_f32_f16 v53, v7, v13
	v_dot2c_f32_f16 v28, v7, v14
	v_dot2c_f32_f16 v29, v7, v15
	ds_read_b128 v[4:7], v80 offset:16128
	ds_read_b128 v[84:87], v81 offset:32512
	v_cmp_gt_i32_e64 s0, s21, v83
	s_waitcnt lgkmcnt(2)
	v_dot2c_f32_f16 v52, v0, v10
	v_dot2c_f32_f16 v41, v1, v10
	;; [unrolled: 1-line block ×4, first 2 shown]
	s_and_b32 s1, s0, vcc_lo
	v_dot2c_f32_f16 v79, v0, v8
	v_dot2c_f32_f16 v78, v0, v9
	v_dot2c_f32_f16 v51, v0, v11
	v_dot2c_f32_f16 v75, v1, v8
	v_dot2c_f32_f16 v71, v2, v8
	v_dot2c_f32_f16 v67, v3, v8
	v_or_b32_e32 v12, 1, v83
	v_dot2c_f32_f16 v74, v1, v9
	v_dot2c_f32_f16 v40, v1, v11
	;; [unrolled: 1-line block ×5, first 2 shown]
	s_waitcnt lgkmcnt(1)
	v_dot2c_f32_f16 v17, v4, v10
	v_dot2c_f32_f16 v23, v5, v10
	;; [unrolled: 1-line block ×4, first 2 shown]
	v_add_nc_u32_e32 v10, 64, v82
	s_waitcnt lgkmcnt(0)
	v_dot2c_f32_f16 v77, v0, v84
	v_dot2c_f32_f16 v76, v0, v85
	;; [unrolled: 1-line block ×14, first 2 shown]
	s_waitcnt vmcnt(15)
	v_cndmask_b32_e64 v8, 0, v89, s1
	v_cndmask_b32_e64 v0, 0, v88, s1
	v_cmp_gt_i32_e64 s1, s33, v10
	v_dot2c_f32_f16 v36, v2, v86
	v_dot2c_f32_f16 v37, v2, v87
	;; [unrolled: 1-line block ×3, first 2 shown]
	v_cvt_f32_f16_e32 v1, v0
	s_and_b32 s0, s0, s1
	v_cvt_f32_f16_sdwa v0, v0 dst_sel:DWORD dst_unused:UNUSED_PAD src0_sel:WORD_1
	s_waitcnt vmcnt(14)
	v_cndmask_b32_e64 v2, 0, v90, s0
	v_dot2c_f32_f16 v22, v5, v11
	v_dot2c_f32_f16 v24, v6, v11
	;; [unrolled: 1-line block ×3, first 2 shown]
	v_cndmask_b32_e64 v11, 0, v91, s0
	v_cmp_gt_i32_e64 s0, s21, v12
	v_dot2c_f32_f16 v66, v3, v9
	v_dot2c_f32_f16 v65, v3, v84
	;; [unrolled: 1-line block ×5, first 2 shown]
	v_add_f32_e32 v1, v79, v1
	v_add_f32_e32 v0, v78, v0
	v_cvt_f32_f16_e32 v3, v2
	s_and_b32 s2, s0, vcc_lo
	v_cvt_f32_f16_sdwa v2, v2 dst_sel:DWORD dst_unused:UNUSED_PAD src0_sel:WORD_1
	v_dot2c_f32_f16 v62, v4, v9
	v_dot2c_f32_f16 v57, v5, v9
	;; [unrolled: 1-line block ×4, first 2 shown]
	v_max_f32_e32 v9, 0, v1
	v_max_f32_e32 v13, 0, v0
	v_add_f32_e32 v0, v77, v3
	s_waitcnt vmcnt(13)
	v_cndmask_b32_e64 v1, 0, v92, s2
	v_add_f32_e32 v2, v76, v2
	v_or_b32_e32 v76, 2, v83
	s_and_b32 s0, s0, s1
	v_max_f32_e32 v77, 0, v0
	v_cvt_f32_f16_e32 v0, v1
	v_cvt_f32_f16_sdwa v1, v1 dst_sel:DWORD dst_unused:UNUSED_PAD src0_sel:WORD_1
	v_dot2c_f32_f16 v61, v4, v84
	v_dot2c_f32_f16 v60, v4, v85
	v_dot2c_f32_f16 v19, v4, v86
	s_waitcnt vmcnt(12)
	v_cndmask_b32_e64 v3, 0, v94, s0
	v_cndmask_b32_e64 v15, 0, v95, s0
	v_cmp_gt_i32_e64 s0, s21, v76
	v_add_f32_e32 v0, v75, v0
	v_add_f32_e32 v1, v74, v1
	v_dot2c_f32_f16 v18, v4, v87
	v_cvt_f32_f16_e32 v4, v3
	v_cndmask_b32_e64 v14, 0, v93, s2
	s_and_b32 s2, s0, vcc_lo
	v_max_f32_e32 v74, 0, v0
	v_max_f32_e32 v75, 0, v1
	v_cvt_f32_f16_sdwa v0, v3 dst_sel:DWORD dst_unused:UNUSED_PAD src0_sel:WORD_1
	s_waitcnt vmcnt(11)
	v_cndmask_b32_e64 v1, 0, v96, s2
	s_and_b32 s0, s0, s1
	v_or_b32_e32 v81, 3, v83
	v_add_f32_e32 v4, v73, v4
	v_max_f32_e32 v73, 0, v2
	s_waitcnt vmcnt(10)
	v_cndmask_b32_e64 v2, 0, v98, s0
	v_cndmask_b32_e64 v80, 0, v99, s0
	v_add_f32_e32 v0, v72, v0
	v_cvt_f32_f16_e32 v3, v1
	v_cmp_gt_i32_e64 s0, s21, v81
	v_max_f32_e32 v78, 0, v4
	v_cvt_f32_f16_sdwa v1, v1 dst_sel:DWORD dst_unused:UNUSED_PAD src0_sel:WORD_1
	v_cvt_f32_f16_e32 v4, v2
	v_cndmask_b32_e64 v79, 0, v97, s2
	v_max_f32_e32 v72, 0, v0
	v_add_f32_e32 v0, v71, v3
	s_and_b32 s2, s0, vcc_lo
	v_add_f32_e32 v1, v70, v1
	v_add_f32_e32 v3, v69, v4
	s_waitcnt vmcnt(8)
	v_cndmask_b32_e64 v4, 0, v100, s2
	v_max_f32_e32 v70, 0, v0
	s_and_b32 s0, s0, s1
	v_or_b32_e32 v0, 64, v83
	v_dot2c_f32_f16 v56, v5, v84
	v_dot2c_f32_f16 v48, v6, v84
	;; [unrolled: 1-line block ×3, first 2 shown]
	v_max_f32_e32 v71, 0, v1
	v_max_f32_e32 v84, 0, v3
	v_cvt_f32_f16_sdwa v1, v2 dst_sel:DWORD dst_unused:UNUSED_PAD src0_sel:WORD_1
	v_cvt_f32_f16_e32 v2, v4
	v_cvt_f32_f16_sdwa v3, v4 dst_sel:DWORD dst_unused:UNUSED_PAD src0_sel:WORD_1
	v_cndmask_b32_e64 v4, 0, v102, s0
	v_dot2c_f32_f16 v54, v5, v85
	v_dot2c_f32_f16 v47, v6, v85
	v_dot2c_f32_f16 v53, v7, v85
	v_cndmask_b32_e64 v85, 0, v103, s0
	v_cmp_gt_i32_e64 s0, s21, v0
	v_dot2c_f32_f16 v21, v5, v86
	v_dot2c_f32_f16 v20, v5, v87
	v_cvt_f32_f16_e32 v5, v4
	v_cvt_f32_f16_sdwa v4, v4 dst_sel:DWORD dst_unused:UNUSED_PAD src0_sel:WORD_1
	v_add_f32_e32 v1, v68, v1
	v_add_f32_e32 v2, v67, v2
	v_cndmask_b32_e64 v69, 0, v101, s2
	s_and_b32 s2, s0, vcc_lo
	s_and_b32 s0, s0, s1
	v_dot2c_f32_f16 v28, v7, v86
	v_dot2c_f32_f16 v29, v7, v87
	s_waitcnt vmcnt(6)
	v_cndmask_b32_e64 v7, 0, v106, s0
	v_add_f32_e32 v64, v64, v4
	v_add_nc_u32_e32 v4, 0x41, v83
	v_add_f32_e32 v3, v66, v3
	v_max_f32_e32 v66, 0, v1
	v_max_f32_e32 v67, 0, v2
	v_add_f32_e32 v1, v65, v5
	v_cndmask_b32_e64 v2, 0, v104, s2
	v_dot2c_f32_f16 v27, v6, v86
	v_dot2c_f32_f16 v26, v6, v87
	v_cndmask_b32_e64 v5, 0, v107, s0
	v_cvt_f32_f16_e32 v6, v7
	v_cmp_gt_i32_e64 s0, s21, v4
	v_cvt_f32_f16_sdwa v7, v7 dst_sel:DWORD dst_unused:UNUSED_PAD src0_sel:WORD_1
	v_max_f32_e32 v65, 0, v1
	v_cvt_f32_f16_e32 v1, v2
	v_max_f32_e32 v68, 0, v3
	v_cndmask_b32_e64 v3, 0, v105, s2
	s_and_b32 s2, s0, vcc_lo
	v_add_f32_e32 v7, v60, v7
	v_add_nc_u32_e32 v60, 0x42, v83
	v_add_f32_e32 v1, v63, v1
	s_and_b32 s0, s0, s1
	s_waitcnt vmcnt(5)
	v_cndmask_b32_e64 v63, 0, v108, s2
	v_cvt_f32_f16_sdwa v2, v2 dst_sel:DWORD dst_unused:UNUSED_PAD src0_sel:WORD_1
	v_add_f32_e32 v6, v61, v6
	v_max_f32_e32 v61, 0, v64
	s_waitcnt vmcnt(4)
	v_cndmask_b32_e64 v64, 0, v111, s0
	v_cndmask_b32_e64 v86, 0, v110, s0
	v_cmp_gt_i32_e64 s0, s21, v60
	v_cvt_f32_f16_e32 v87, v63
	v_add_f32_e32 v2, v62, v2
	v_cndmask_b32_e64 v62, 0, v109, s2
	v_cvt_f32_f16_e32 v88, v86
	s_and_b32 s2, s0, vcc_lo
	v_max_f32_e32 v89, 0, v7
	v_add_f32_e32 v7, v58, v87
	v_cvt_f32_f16_sdwa v58, v86 dst_sel:DWORD dst_unused:UNUSED_PAD src0_sel:WORD_1
	s_and_b32 s0, s0, s1
	s_waitcnt vmcnt(3)
	v_cndmask_b32_e64 v86, 0, v112, s2
	v_add_f32_e32 v56, v56, v88
	v_max_f32_e32 v87, 0, v7
	v_add_f32_e32 v7, v54, v58
	v_cvt_f16_f32_e32 v9, v9
	v_cvt_f32_f16_e32 v54, v86
	v_cvt_f32_f16_sdwa v58, v86 dst_sel:DWORD dst_unused:UNUSED_PAD src0_sel:WORD_1
	v_add_nc_u32_e32 v86, 0x43, v83
	s_waitcnt vmcnt(2)
	v_cndmask_b32_e64 v88, 0, v115, s0
	v_cndmask_b32_e64 v90, 0, v114, s0
	v_max_f32_e32 v91, 0, v7
	v_add_f32_e32 v7, v50, v54
	v_cmp_gt_i32_e64 s0, s21, v86
	v_add_f32_e32 v49, v49, v58
	v_cvt_f32_f16_e32 v50, v90
	v_cvt_f32_f16_sdwa v54, v90 dst_sel:DWORD dst_unused:UNUSED_PAD src0_sel:WORD_1
	v_max_f32_e32 v92, 0, v7
	s_and_b32 vcc_lo, s0, vcc_lo
	v_cvt_f16_f32_e32 v13, v13
	v_add_f32_e32 v7, v48, v50
	v_add_f32_e32 v47, v47, v54
	v_cvt_f32_f16_sdwa v63, v63 dst_sel:DWORD dst_unused:UNUSED_PAD src0_sel:WORD_1
	v_max_f32_e32 v49, 0, v49
	s_waitcnt vmcnt(0)
	v_cndmask_b32_e32 v90, 0, v116, vcc_lo
	v_cndmask_b32_e32 v58, 0, v117, vcc_lo
	s_and_b32 vcc_lo, s0, s1
	v_max_f32_e32 v93, 0, v7
	v_cndmask_b32_e32 v54, 0, v118, vcc_lo
	v_cvt_f32_f16_e32 v48, v90
	v_cvt_f32_f16_sdwa v90, v90 dst_sel:DWORD dst_unused:UNUSED_PAD src0_sel:WORD_1
	v_cndmask_b32_e32 v50, 0, v119, vcc_lo
	v_cmp_gt_i32_e32 vcc_lo, s23, v82
	v_cmp_gt_i32_e64 s1, s11, v83
	v_add_f32_e32 v7, v46, v48
	v_cvt_f32_f16_e32 v46, v54
	v_add_f32_e32 v48, v59, v90
	v_cvt_f32_f16_sdwa v59, v8 dst_sel:DWORD dst_unused:UNUSED_PAD src0_sel:WORD_1
	v_cvt_f32_f16_e32 v8, v8
	v_max_f32_e32 v90, 0, v7
	v_add_f32_e32 v7, v55, v46
	v_max_f32_e32 v46, 0, v48
	v_add_f32_e32 v48, v51, v59
	v_add_f32_e32 v8, v52, v8
	v_cvt_f32_f16_sdwa v51, v54 dst_sel:DWORD dst_unused:UNUSED_PAD src0_sel:WORD_1
	v_max_f32_e32 v52, 0, v7
	v_mul_lo_u32 v7, v83, s34
	v_max_f32_e32 v48, 0, v48
	v_max_f32_e32 v8, 0, v8
	v_add_f32_e32 v51, v53, v51
	s_and_b32 s0, s1, vcc_lo
	v_add_f32_e32 v57, v57, v63
	v_cvt_f16_f32_e32 v48, v48
	v_cvt_f16_f32_e32 v53, v8
	v_mad_u64_u32 v[7:8], null, v82, s35, v[7:8]
	v_pack_b32_f16 v8, v9, v13
	v_cvt_f32_f16_sdwa v13, v11 dst_sel:DWORD dst_unused:UNUSED_PAD src0_sel:WORD_1
	v_cvt_f32_f16_e32 v11, v11
	v_cndmask_b32_e64 v63, 0, v113, s2
	s_lshl_b32 s2, s35, 6
	v_pack_b32_f16 v9, v53, v48
	v_add_f32_e32 v13, v44, v13
	v_add_f32_e32 v11, v45, v11
	v_cndmask_b32_e64 v44, 0x80000000, 0, s0
	v_cmp_gt_i32_e64 s0, s23, v10
	v_cvt_f16_f32_e32 v10, v77
	v_max_f32_e32 v13, 0, v13
	v_max_f32_e32 v11, 0, v11
	v_cvt_f16_f32_e32 v48, v73
	s_and_b32 s1, s1, s0
	v_add_nc_u32_e32 v45, s2, v7
	v_cvt_f16_f32_e32 v13, v13
	v_cvt_f16_f32_e32 v11, v11
	v_cndmask_b32_e64 v53, 0x80000000, 0, s1
	v_lshl_add_u32 v44, v7, 1, v44
	v_pack_b32_f16 v10, v10, v48
	v_cvt_f32_f16_sdwa v48, v15 dst_sel:DWORD dst_unused:UNUSED_PAD src0_sel:WORD_1
	v_cvt_f32_f16_e32 v15, v15
	v_pack_b32_f16 v11, v11, v13
	v_lshl_add_u32 v13, v45, 1, v53
	buffer_store_dwordx2 v[8:9], v44, s[12:15], 0 offen
	buffer_store_dwordx2 v[10:11], v13, s[12:15], 0 offen
	v_add_f32_e32 v43, v43, v48
	v_add_f32_e32 v8, v42, v15
	v_cmp_gt_i32_e64 s1, s11, v12
	v_cvt_f32_f16_sdwa v12, v14 dst_sel:DWORD dst_unused:UNUSED_PAD src0_sel:WORD_1
	v_cvt_f32_f16_e32 v13, v14
	v_max_f32_e32 v9, 0, v43
	v_max_f32_e32 v8, 0, v8
	s_and_b32 s3, s1, s0
	v_add_nc_u32_e32 v15, s34, v45
	v_cvt_f16_f32_e32 v10, v78
	v_cvt_f16_f32_e32 v11, v72
	;; [unrolled: 1-line block ×4, first 2 shown]
	v_cndmask_b32_e64 v42, 0x80000000, 0, s3
	v_add_f32_e32 v12, v40, v12
	v_add_f32_e32 v13, v41, v13
	v_pack_b32_f16 v8, v10, v11
	v_pack_b32_f16 v9, v14, v9
	v_lshl_add_u32 v14, v15, 1, v42
	v_max_f32_e32 v10, 0, v12
	v_max_f32_e32 v11, 0, v13
	v_cvt_f16_f32_e32 v12, v74
	v_cvt_f16_f32_e32 v13, v75
	v_cvt_f32_f16_sdwa v41, v79 dst_sel:DWORD dst_unused:UNUSED_PAD src0_sel:WORD_1
	v_cvt_f32_f16_e32 v42, v79
	v_cvt_f16_f32_e32 v40, v10
	s_and_b32 s1, s1, vcc_lo
	v_pack_b32_f16 v10, v12, v13
	v_add_f32_e32 v12, v38, v41
	v_add_f32_e32 v13, v39, v42
	v_cndmask_b32_e64 v43, 0x80000000, 0, s1
	v_cmp_gt_i32_e64 s1, s11, v76
	v_add_nc_u32_e32 v7, s34, v7
	v_cvt_f16_f32_e32 v11, v11
	v_max_f32_e32 v12, 0, v12
	v_max_f32_e32 v13, 0, v13
	s_and_b32 s3, s1, vcc_lo
	v_lshl_add_u32 v38, v7, 1, v43
	v_pack_b32_f16 v11, v11, v40
	v_cvt_f16_f32_e32 v39, v70
	v_cvt_f16_f32_e32 v40, v71
	v_cvt_f32_f16_sdwa v43, v80 dst_sel:DWORD dst_unused:UNUSED_PAD src0_sel:WORD_1
	v_add_nc_u32_e32 v7, s34, v7
	v_cvt_f16_f32_e32 v41, v12
	v_cvt_f16_f32_e32 v13, v13
	v_cndmask_b32_e64 v42, 0x80000000, 0, s3
	v_pack_b32_f16 v12, v39, v40
	v_cvt_f32_f16_e32 v39, v80
	v_add_f32_e32 v37, v37, v43
	v_pack_b32_f16 v13, v13, v41
	v_lshl_add_u32 v7, v7, 1, v42
	buffer_store_dwordx2 v[8:9], v14, s[12:15], 0 offen
	v_add_f32_e32 v8, v36, v39
	buffer_store_dwordx2 v[10:11], v38, s[12:15], 0 offen
	buffer_store_dwordx2 v[12:13], v7, s[12:15], 0 offen
	v_max_f32_e32 v7, 0, v37
	v_cvt_f16_f32_e32 v9, v84
	v_max_f32_e32 v8, 0, v8
	v_cvt_f16_f32_e32 v10, v66
	v_cvt_f32_f16_e32 v12, v85
	v_cvt_f16_f32_e32 v11, v7
	v_cvt_f32_f16_sdwa v7, v85 dst_sel:DWORD dst_unused:UNUSED_PAD src0_sel:WORD_1
	v_add_nc_u32_e32 v13, s34, v15
	v_cvt_f16_f32_e32 v8, v8
	s_and_b32 s1, s1, s0
	v_max_f32_e32 v51, 0, v51
	v_add_f32_e32 v15, v35, v7
	v_pack_b32_f16 v7, v9, v10
	v_add_f32_e32 v9, v34, v12
	v_pack_b32_f16 v8, v8, v11
	v_cvt_f16_f32_e32 v11, v65
	v_cvt_f16_f32_e32 v12, v61
	v_cvt_f32_f16_sdwa v34, v69 dst_sel:DWORD dst_unused:UNUSED_PAD src0_sel:WORD_1
	v_max_f32_e32 v9, 0, v9
	v_cvt_f32_f16_e32 v35, v69
	v_cndmask_b32_e64 v14, 0x80000000, 0, s1
	v_max_f32_e32 v10, 0, v15
	v_cmp_gt_i32_e64 s1, s11, v81
	v_cvt_f16_f32_e32 v36, v9
	v_pack_b32_f16 v9, v11, v12
	v_add_f32_e32 v11, v32, v34
	v_add_f32_e32 v12, v33, v35
	v_lshl_add_u32 v14, v13, 1, v14
	v_add_nc_u32_e32 v15, s34, v13
	v_cvt_f16_f32_e32 v10, v10
	v_max_f32_e32 v11, 0, v11
	v_max_f32_e32 v12, 0, v12
	v_cvt_f16_f32_e32 v34, v67
	v_cvt_f16_f32_e32 v35, v68
	s_and_b32 s3, s1, s0
	s_and_b32 s1, s1, vcc_lo
	v_pack_b32_f16 v10, v36, v10
	v_cndmask_b32_e64 v32, 0x80000000, 0, s3
	v_subrev_nc_u32_e32 v33, s2, v15
	v_cvt_f16_f32_e32 v36, v11
	v_cvt_f16_f32_e32 v12, v12
	v_cndmask_b32_e64 v37, 0x80000000, 0, s1
	v_pack_b32_f16 v11, v34, v35
	v_cvt_f32_f16_sdwa v34, v58 dst_sel:DWORD dst_unused:UNUSED_PAD src0_sel:WORD_1
	buffer_store_dwordx2 v[7:8], v14, s[12:15], 0 offen
	v_cvt_f32_f16_e32 v7, v58
	v_lshl_add_u32 v32, v15, 1, v32
	v_pack_b32_f16 v12, v12, v36
	v_lshl_add_u32 v35, v33, 1, v37
	v_add_f32_e32 v8, v31, v34
	v_add_f32_e32 v7, v30, v7
	v_cmp_gt_i32_e64 s1, s11, v86
	buffer_store_dwordx2 v[9:10], v32, s[12:15], 0 offen
	buffer_store_dwordx2 v[11:12], v35, s[12:15], 0 offen
	v_max_f32_e32 v8, 0, v8
	v_max_f32_e32 v7, 0, v7
	v_cvt_f32_f16_sdwa v12, v50 dst_sel:DWORD dst_unused:UNUSED_PAD src0_sel:WORD_1
	v_cvt_f32_f16_e32 v14, v50
	s_lshl_b32 s3, s34, 6
	s_and_b32 s4, s1, vcc_lo
	v_add_nc_u32_e32 v9, s3, v33
	v_cvt_f16_f32_e32 v10, v90
	v_cvt_f16_f32_e32 v11, v46
	;; [unrolled: 1-line block ×4, first 2 shown]
	v_cndmask_b32_e64 v31, 0x80000000, 0, s4
	v_add_f32_e32 v12, v29, v12
	v_add_f32_e32 v14, v28, v14
	v_pack_b32_f16 v7, v10, v11
	v_pack_b32_f16 v8, v30, v8
	v_lshl_add_u32 v28, v9, 1, v31
	v_max_f32_e32 v9, 0, v12
	v_max_f32_e32 v10, 0, v14
	v_cvt_f16_f32_e32 v12, v52
	v_cvt_f16_f32_e32 v14, v51
	v_cvt_f32_f16_sdwa v29, v88 dst_sel:DWORD dst_unused:UNUSED_PAD src0_sel:WORD_1
	v_cvt_f32_f16_e32 v30, v88
	s_and_b32 s1, s1, s0
	v_max_f32_e32 v47, 0, v47
	v_add_nc_u32_e32 v11, s3, v15
	v_cvt_f16_f32_e32 v15, v9
	v_cvt_f16_f32_e32 v10, v10
	v_cndmask_b32_e64 v31, 0x80000000, 0, s1
	v_pack_b32_f16 v9, v12, v14
	v_add_f32_e32 v12, v26, v29
	v_add_f32_e32 v14, v27, v30
	v_cmp_ge_i32_e64 s1, s11, v86
	v_pack_b32_f16 v10, v10, v15
	v_lshl_add_u32 v15, v11, 1, v31
	v_max_f32_e32 v11, 0, v12
	v_max_f32_e32 v12, 0, v14
	v_cvt_f16_f32_e32 v14, v93
	v_cvt_f16_f32_e32 v26, v47
	s_and_b32 s1, s1, s0
	v_cvt_f16_f32_e32 v27, v11
	v_add_nc_u32_e32 v13, s3, v13
	v_cvt_f16_f32_e32 v12, v12
	v_pack_b32_f16 v11, v14, v26
	v_cvt_f32_f16_sdwa v14, v63 dst_sel:DWORD dst_unused:UNUSED_PAD src0_sel:WORD_1
	v_cndmask_b32_e64 v29, 0x80000000, 0, s1
	buffer_store_dwordx2 v[7:8], v28, s[12:15], 0 offen
	v_pack_b32_f16 v12, v12, v27
	v_cmp_gt_i32_e64 s1, s11, v60
	v_add_f32_e32 v7, v24, v14
	v_lshl_add_u32 v27, v13, 1, v29
	v_cvt_f32_f16_e32 v26, v63
	buffer_store_dwordx2 v[9:10], v15, s[12:15], 0 offen
	buffer_store_dwordx2 v[11:12], v27, s[12:15], 0 offen
	v_subrev_nc_u32_e32 v9, s2, v13
	v_max_f32_e32 v7, 0, v7
	v_cvt_f16_f32_e32 v10, v92
	v_cvt_f16_f32_e32 v11, v49
	v_cvt_f32_f16_e32 v13, v62
	v_cvt_f32_f16_sdwa v14, v62 dst_sel:DWORD dst_unused:UNUSED_PAD src0_sel:WORD_1
	s_and_b32 s1, s1, vcc_lo
	v_add_f32_e32 v8, v25, v26
	v_cvt_f16_f32_e32 v12, v7
	v_cndmask_b32_e64 v15, 0x80000000, 0, s1
	v_pack_b32_f16 v7, v10, v11
	v_add_f32_e32 v10, v22, v14
	v_add_f32_e32 v11, v23, v13
	v_max_f32_e32 v8, 0, v8
	v_lshl_add_u32 v13, v9, 1, v15
	v_cvt_f32_f16_e32 v14, v64
	v_max_f32_e32 v10, 0, v10
	v_max_f32_e32 v11, 0, v11
	v_cvt_f32_f16_sdwa v15, v64 dst_sel:DWORD dst_unused:UNUSED_PAD src0_sel:WORD_1
	v_max_f32_e32 v57, 0, v57
	v_cvt_f16_f32_e32 v8, v8
	v_cvt_f16_f32_e32 v10, v10
	;; [unrolled: 1-line block ×3, first 2 shown]
	v_add_f32_e32 v14, v21, v14
	v_add_f32_e32 v15, v20, v15
	v_cmp_ge_i32_e64 s1, s11, v60
	v_pack_b32_f16 v8, v8, v12
	v_subrev_nc_u32_e32 v12, s34, v9
	v_cvt_f16_f32_e32 v9, v87
	v_cvt_f16_f32_e32 v22, v57
	v_pack_b32_f16 v10, v11, v10
	v_max_f32_e32 v11, 0, v14
	v_max_f32_e32 v14, 0, v15
	s_and_b32 s1, s1, vcc_lo
	v_max_f32_e32 v56, 0, v56
	v_pack_b32_f16 v9, v9, v22
	v_cndmask_b32_e64 v15, 0x80000000, 0, s1
	v_cvt_f16_f32_e32 v14, v14
	v_cvt_f16_f32_e32 v22, v11
	v_max_f32_e32 v6, 0, v6
	v_cvt_f16_f32_e32 v20, v56
	v_cvt_f16_f32_e32 v21, v91
	v_lshl_add_u32 v15, v12, 1, v15
	v_add_nc_u32_e32 v23, s2, v12
	v_pack_b32_f16 v12, v22, v14
	v_cvt_f32_f16_e32 v14, v5
	v_cvt_f32_f16_sdwa v5, v5 dst_sel:DWORD dst_unused:UNUSED_PAD src0_sel:WORD_1
	v_cmp_gt_i32_e64 s1, s11, v4
	v_pack_b32_f16 v11, v20, v21
	v_cvt_f16_f32_e32 v6, v6
	v_cvt_f16_f32_e32 v21, v89
	v_add_f32_e32 v18, v18, v5
	v_add_f32_e32 v14, v19, v14
	s_and_b32 s1, s1, s0
	v_max_f32_e32 v1, 0, v1
	v_pack_b32_f16 v5, v6, v21
	v_max_f32_e32 v6, 0, v18
	v_max_f32_e32 v14, 0, v14
	v_cvt_f32_f16_sdwa v18, v3 dst_sel:DWORD dst_unused:UNUSED_PAD src0_sel:WORD_1
	v_cvt_f32_f16_e32 v3, v3
	v_cndmask_b32_e64 v20, 0x80000000, 0, s1
	v_cmp_ge_i32_e64 s1, s11, v4
	v_cvt_f16_f32_e32 v4, v6
	v_cvt_f16_f32_e32 v6, v14
	v_add_f32_e32 v14, v16, v18
	v_add_f32_e32 v3, v17, v3
	s_and_b32 s0, s1, s0
	v_max_f32_e32 v2, 0, v2
	v_cndmask_b32_e64 v16, 0x80000000, 0, s0
	v_cmp_gt_i32_e64 s0, s11, v0
	v_lshl_add_u32 v19, v23, 1, v20
	v_subrev_nc_u32_e32 v20, s34, v23
	v_max_f32_e32 v14, 0, v14
	v_max_f32_e32 v3, 0, v3
	s_and_b32 s0, s0, vcc_lo
	v_cvt_f16_f32_e32 v0, v1
	v_subrev_nc_u32_e32 v17, s2, v20
	v_cvt_f16_f32_e32 v1, v2
	v_cvt_f16_f32_e32 v2, v14
	;; [unrolled: 1-line block ×3, first 2 shown]
	v_cndmask_b32_e64 v14, 0x80000000, 0, s0
	v_pack_b32_f16 v6, v6, v4
	v_lshl_add_u32 v4, v20, 1, v16
	v_pack_b32_f16 v0, v0, v1
	v_pack_b32_f16 v1, v3, v2
	v_lshl_add_u32 v2, v17, 1, v14
	buffer_store_dwordx2 v[7:8], v13, s[12:15], 0 offen
	buffer_store_dwordx2 v[9:10], v15, s[12:15], 0 offen
	;; [unrolled: 1-line block ×5, first 2 shown]
	s_endpgm
	.section	.rodata,"a",@progbits
	.p2align	6, 0x0
	.amdhsa_kernel _ZN2ck16tensor_operation6device12_GLOBAL__N_137kernel_grouped_conv_fwd_dl_multiple_dINS_32GridwiseGemmDlMultipleD_km_kn_mnILi256EDF16_fNS_5TupleIJDF16_EEEDF16_NS0_12element_wise11PassThroughES8_NS7_7AddReluELNS_25InMemoryDataOperationEnumE0ENS_16TensorDescriptorINS5_IJNS_5EmbedINS5_IJiiiEEESD_Lb0EEENS_11PassThroughIiEENS_3PadIiiiLb0EEESG_SG_NSC_INS5_IJiiEEESJ_Lb0EEESG_NS_23Merge_v2_magic_divisionISJ_EESM_NS_8RightPadIiiLb0EEESO_NS_7UnMergeISJ_Lb0EEESG_EEENS5_IJNS_8SequenceIJLi0EEEENSS_IJLi1EEEENSS_IJLi2EEEENSS_IJLi3EEEENSS_IJLi4EEEENSS_IJLi5EEEENSS_IJLi6EEEENSS_IJLi7ELi9EEEENSS_IJLi8ELi10EEEENSS_IJLi11EEEENSS_IJLi12EEEENSS_IJLi14EEEENSS_IJLi13EEEEEEENS5_IJNSS_IJLi1ELi2ELi3EEEESX_SY_SZ_NSS_IJLi7EEEENSS_IJLi8ELi9EEEENSS_IJLi10EEEES12_S13_S15_S14_NSS_IJLi15ELi16EEEENSS_IJLi17EEEEEEENSS_IJLi15ELi17ELi16EEEElEENSB_INS5_IJSQ_SO_SO_SQ_SG_EEENS5_IJST_SU_SV_SX_SW_EEENS5_IJNSS_IJLi1ELi2EEEESW_SX_NSS_IJLi5ELi6EEEES18_EEENSS_IJLi5ELi7ELi6EEEElEENSB_INS5_IJSK_SO_SO_EEENS5_IJST_SU_SV_EEENS5_IJS1I_SW_SX_EEENSS_IJLi3ELi4EEEElEELi128ELi128ELi16ELi2ELi4ELi4ELi1ENSS_IJLi8ELi2EEEES1S_NSS_IJLi8ELi1ELi1ELi2EEEENSS_IJLi2ELi1ELi128ELi1EEEENSS_IJLi1ELi2ELi0ELi3EEEES1V_NSS_IJLi4ELi1ELi1ELi2EEEES1V_NSS_IJLi1ELi1ELi1ELi2EEEES1T_S1U_S1V_S1V_S1W_S1V_S1X_NSS_IJLi0ELi1ELi2ELi3ELi4ELi5EEEELi5ELi4EEEDF16_NS5_IJPKDF16_EEEDF16_S8_S8_S9_NSB_INS5_IJSE_SG_SI_SG_SG_SK_SG_SM_SM_SO_SO_SQ_SG_SG_NSP_INS5_IJiNS_17integral_constantIiLi128EEEEEELb0EEENSF_INS23_IiLi2EEEEEEEENS5_IJST_SU_SV_SW_SX_SY_SZ_S10_S11_S12_S13_S14_S15_NSS_IJLi15EEEES1C_NSS_IJLi16EEEEEEENS5_IJS17_SX_SY_SZ_S18_S19_S1A_S12_S13_S15_S14_S1B_S1C_NSS_IJLi18EEEENSS_IJLi19ELi20EEEENSS_IJLi21EEEEEEENSS_IJLi18ELi19ELi20ELi21EEEElEENSB_INS5_IJSQ_SO_SO_SQ_SG_SG_S26_S28_EEENS5_IJST_SU_SV_SX_SW_SY_S18_SZ_EEENS5_IJS1I_SW_SX_S1J_S18_NSS_IJLi8EEEENSS_IJLi9ELi10EEEES12_EEENSS_IJLi8ELi9ELi10ELi11EEEElEENS5_IJNSB_INS5_IJSK_SO_SO_NSP_INS5_IJiS27_NS23_IiLi64EEEEEELb0EEES2S_EEENS5_IJST_SU_SV_SW_SX_EEENS5_IJS1I_SW_SX_NSS_IJLi5ELi6ELi7EEEENSS_IJLi8ELi9ELi10EEEEEEENSS_IJLi5ELi6ELi7ELi8ELi9ELi10EEEElEEEEES2Z_NS_31BlockToCTileMap_M00_N00_M01_N01ILi128ELi128ES1R_Lb0EEENS1_30ComputePtrOffsetOfStridedBatchILi1ELi1ELi1EvEELb1ELb1EEEvPKT0_S37_T1_PT2_T3_T4_T5_iT6_T7_T8_T9_T10_T11_
		.amdhsa_group_segment_fixed_size 32768
		.amdhsa_private_segment_fixed_size 0
		.amdhsa_kernarg_size 904
		.amdhsa_user_sgpr_count 6
		.amdhsa_user_sgpr_private_segment_buffer 1
		.amdhsa_user_sgpr_dispatch_ptr 0
		.amdhsa_user_sgpr_queue_ptr 0
		.amdhsa_user_sgpr_kernarg_segment_ptr 1
		.amdhsa_user_sgpr_dispatch_id 0
		.amdhsa_user_sgpr_flat_scratch_init 0
		.amdhsa_user_sgpr_private_segment_size 0
		.amdhsa_wavefront_size32 1
		.amdhsa_uses_dynamic_stack 0
		.amdhsa_system_sgpr_private_segment_wavefront_offset 0
		.amdhsa_system_sgpr_workgroup_id_x 1
		.amdhsa_system_sgpr_workgroup_id_y 0
		.amdhsa_system_sgpr_workgroup_id_z 0
		.amdhsa_system_sgpr_workgroup_info 0
		.amdhsa_system_vgpr_workitem_id 0
		.amdhsa_next_free_vgpr 128
		.amdhsa_next_free_sgpr 62
		.amdhsa_reserve_vcc 1
		.amdhsa_reserve_flat_scratch 0
		.amdhsa_float_round_mode_32 0
		.amdhsa_float_round_mode_16_64 0
		.amdhsa_float_denorm_mode_32 3
		.amdhsa_float_denorm_mode_16_64 3
		.amdhsa_dx10_clamp 1
		.amdhsa_ieee_mode 1
		.amdhsa_fp16_overflow 0
		.amdhsa_workgroup_processor_mode 1
		.amdhsa_memory_ordered 1
		.amdhsa_forward_progress 1
		.amdhsa_shared_vgpr_count 0
		.amdhsa_exception_fp_ieee_invalid_op 0
		.amdhsa_exception_fp_denorm_src 0
		.amdhsa_exception_fp_ieee_div_zero 0
		.amdhsa_exception_fp_ieee_overflow 0
		.amdhsa_exception_fp_ieee_underflow 0
		.amdhsa_exception_fp_ieee_inexact 0
		.amdhsa_exception_int_div_zero 0
	.end_amdhsa_kernel
	.section	.text._ZN2ck16tensor_operation6device12_GLOBAL__N_137kernel_grouped_conv_fwd_dl_multiple_dINS_32GridwiseGemmDlMultipleD_km_kn_mnILi256EDF16_fNS_5TupleIJDF16_EEEDF16_NS0_12element_wise11PassThroughES8_NS7_7AddReluELNS_25InMemoryDataOperationEnumE0ENS_16TensorDescriptorINS5_IJNS_5EmbedINS5_IJiiiEEESD_Lb0EEENS_11PassThroughIiEENS_3PadIiiiLb0EEESG_SG_NSC_INS5_IJiiEEESJ_Lb0EEESG_NS_23Merge_v2_magic_divisionISJ_EESM_NS_8RightPadIiiLb0EEESO_NS_7UnMergeISJ_Lb0EEESG_EEENS5_IJNS_8SequenceIJLi0EEEENSS_IJLi1EEEENSS_IJLi2EEEENSS_IJLi3EEEENSS_IJLi4EEEENSS_IJLi5EEEENSS_IJLi6EEEENSS_IJLi7ELi9EEEENSS_IJLi8ELi10EEEENSS_IJLi11EEEENSS_IJLi12EEEENSS_IJLi14EEEENSS_IJLi13EEEEEEENS5_IJNSS_IJLi1ELi2ELi3EEEESX_SY_SZ_NSS_IJLi7EEEENSS_IJLi8ELi9EEEENSS_IJLi10EEEES12_S13_S15_S14_NSS_IJLi15ELi16EEEENSS_IJLi17EEEEEEENSS_IJLi15ELi17ELi16EEEElEENSB_INS5_IJSQ_SO_SO_SQ_SG_EEENS5_IJST_SU_SV_SX_SW_EEENS5_IJNSS_IJLi1ELi2EEEESW_SX_NSS_IJLi5ELi6EEEES18_EEENSS_IJLi5ELi7ELi6EEEElEENSB_INS5_IJSK_SO_SO_EEENS5_IJST_SU_SV_EEENS5_IJS1I_SW_SX_EEENSS_IJLi3ELi4EEEElEELi128ELi128ELi16ELi2ELi4ELi4ELi1ENSS_IJLi8ELi2EEEES1S_NSS_IJLi8ELi1ELi1ELi2EEEENSS_IJLi2ELi1ELi128ELi1EEEENSS_IJLi1ELi2ELi0ELi3EEEES1V_NSS_IJLi4ELi1ELi1ELi2EEEES1V_NSS_IJLi1ELi1ELi1ELi2EEEES1T_S1U_S1V_S1V_S1W_S1V_S1X_NSS_IJLi0ELi1ELi2ELi3ELi4ELi5EEEELi5ELi4EEEDF16_NS5_IJPKDF16_EEEDF16_S8_S8_S9_NSB_INS5_IJSE_SG_SI_SG_SG_SK_SG_SM_SM_SO_SO_SQ_SG_SG_NSP_INS5_IJiNS_17integral_constantIiLi128EEEEEELb0EEENSF_INS23_IiLi2EEEEEEEENS5_IJST_SU_SV_SW_SX_SY_SZ_S10_S11_S12_S13_S14_S15_NSS_IJLi15EEEES1C_NSS_IJLi16EEEEEEENS5_IJS17_SX_SY_SZ_S18_S19_S1A_S12_S13_S15_S14_S1B_S1C_NSS_IJLi18EEEENSS_IJLi19ELi20EEEENSS_IJLi21EEEEEEENSS_IJLi18ELi19ELi20ELi21EEEElEENSB_INS5_IJSQ_SO_SO_SQ_SG_SG_S26_S28_EEENS5_IJST_SU_SV_SX_SW_SY_S18_SZ_EEENS5_IJS1I_SW_SX_S1J_S18_NSS_IJLi8EEEENSS_IJLi9ELi10EEEES12_EEENSS_IJLi8ELi9ELi10ELi11EEEElEENS5_IJNSB_INS5_IJSK_SO_SO_NSP_INS5_IJiS27_NS23_IiLi64EEEEEELb0EEES2S_EEENS5_IJST_SU_SV_SW_SX_EEENS5_IJS1I_SW_SX_NSS_IJLi5ELi6ELi7EEEENSS_IJLi8ELi9ELi10EEEEEEENSS_IJLi5ELi6ELi7ELi8ELi9ELi10EEEElEEEEES2Z_NS_31BlockToCTileMap_M00_N00_M01_N01ILi128ELi128ES1R_Lb0EEENS1_30ComputePtrOffsetOfStridedBatchILi1ELi1ELi1EvEELb1ELb1EEEvPKT0_S37_T1_PT2_T3_T4_T5_iT6_T7_T8_T9_T10_T11_,"axG",@progbits,_ZN2ck16tensor_operation6device12_GLOBAL__N_137kernel_grouped_conv_fwd_dl_multiple_dINS_32GridwiseGemmDlMultipleD_km_kn_mnILi256EDF16_fNS_5TupleIJDF16_EEEDF16_NS0_12element_wise11PassThroughES8_NS7_7AddReluELNS_25InMemoryDataOperationEnumE0ENS_16TensorDescriptorINS5_IJNS_5EmbedINS5_IJiiiEEESD_Lb0EEENS_11PassThroughIiEENS_3PadIiiiLb0EEESG_SG_NSC_INS5_IJiiEEESJ_Lb0EEESG_NS_23Merge_v2_magic_divisionISJ_EESM_NS_8RightPadIiiLb0EEESO_NS_7UnMergeISJ_Lb0EEESG_EEENS5_IJNS_8SequenceIJLi0EEEENSS_IJLi1EEEENSS_IJLi2EEEENSS_IJLi3EEEENSS_IJLi4EEEENSS_IJLi5EEEENSS_IJLi6EEEENSS_IJLi7ELi9EEEENSS_IJLi8ELi10EEEENSS_IJLi11EEEENSS_IJLi12EEEENSS_IJLi14EEEENSS_IJLi13EEEEEEENS5_IJNSS_IJLi1ELi2ELi3EEEESX_SY_SZ_NSS_IJLi7EEEENSS_IJLi8ELi9EEEENSS_IJLi10EEEES12_S13_S15_S14_NSS_IJLi15ELi16EEEENSS_IJLi17EEEEEEENSS_IJLi15ELi17ELi16EEEElEENSB_INS5_IJSQ_SO_SO_SQ_SG_EEENS5_IJST_SU_SV_SX_SW_EEENS5_IJNSS_IJLi1ELi2EEEESW_SX_NSS_IJLi5ELi6EEEES18_EEENSS_IJLi5ELi7ELi6EEEElEENSB_INS5_IJSK_SO_SO_EEENS5_IJST_SU_SV_EEENS5_IJS1I_SW_SX_EEENSS_IJLi3ELi4EEEElEELi128ELi128ELi16ELi2ELi4ELi4ELi1ENSS_IJLi8ELi2EEEES1S_NSS_IJLi8ELi1ELi1ELi2EEEENSS_IJLi2ELi1ELi128ELi1EEEENSS_IJLi1ELi2ELi0ELi3EEEES1V_NSS_IJLi4ELi1ELi1ELi2EEEES1V_NSS_IJLi1ELi1ELi1ELi2EEEES1T_S1U_S1V_S1V_S1W_S1V_S1X_NSS_IJLi0ELi1ELi2ELi3ELi4ELi5EEEELi5ELi4EEEDF16_NS5_IJPKDF16_EEEDF16_S8_S8_S9_NSB_INS5_IJSE_SG_SI_SG_SG_SK_SG_SM_SM_SO_SO_SQ_SG_SG_NSP_INS5_IJiNS_17integral_constantIiLi128EEEEEELb0EEENSF_INS23_IiLi2EEEEEEEENS5_IJST_SU_SV_SW_SX_SY_SZ_S10_S11_S12_S13_S14_S15_NSS_IJLi15EEEES1C_NSS_IJLi16EEEEEEENS5_IJS17_SX_SY_SZ_S18_S19_S1A_S12_S13_S15_S14_S1B_S1C_NSS_IJLi18EEEENSS_IJLi19ELi20EEEENSS_IJLi21EEEEEEENSS_IJLi18ELi19ELi20ELi21EEEElEENSB_INS5_IJSQ_SO_SO_SQ_SG_SG_S26_S28_EEENS5_IJST_SU_SV_SX_SW_SY_S18_SZ_EEENS5_IJS1I_SW_SX_S1J_S18_NSS_IJLi8EEEENSS_IJLi9ELi10EEEES12_EEENSS_IJLi8ELi9ELi10ELi11EEEElEENS5_IJNSB_INS5_IJSK_SO_SO_NSP_INS5_IJiS27_NS23_IiLi64EEEEEELb0EEES2S_EEENS5_IJST_SU_SV_SW_SX_EEENS5_IJS1I_SW_SX_NSS_IJLi5ELi6ELi7EEEENSS_IJLi8ELi9ELi10EEEEEEENSS_IJLi5ELi6ELi7ELi8ELi9ELi10EEEElEEEEES2Z_NS_31BlockToCTileMap_M00_N00_M01_N01ILi128ELi128ES1R_Lb0EEENS1_30ComputePtrOffsetOfStridedBatchILi1ELi1ELi1EvEELb1ELb1EEEvPKT0_S37_T1_PT2_T3_T4_T5_iT6_T7_T8_T9_T10_T11_,comdat
.Lfunc_end1:
	.size	_ZN2ck16tensor_operation6device12_GLOBAL__N_137kernel_grouped_conv_fwd_dl_multiple_dINS_32GridwiseGemmDlMultipleD_km_kn_mnILi256EDF16_fNS_5TupleIJDF16_EEEDF16_NS0_12element_wise11PassThroughES8_NS7_7AddReluELNS_25InMemoryDataOperationEnumE0ENS_16TensorDescriptorINS5_IJNS_5EmbedINS5_IJiiiEEESD_Lb0EEENS_11PassThroughIiEENS_3PadIiiiLb0EEESG_SG_NSC_INS5_IJiiEEESJ_Lb0EEESG_NS_23Merge_v2_magic_divisionISJ_EESM_NS_8RightPadIiiLb0EEESO_NS_7UnMergeISJ_Lb0EEESG_EEENS5_IJNS_8SequenceIJLi0EEEENSS_IJLi1EEEENSS_IJLi2EEEENSS_IJLi3EEEENSS_IJLi4EEEENSS_IJLi5EEEENSS_IJLi6EEEENSS_IJLi7ELi9EEEENSS_IJLi8ELi10EEEENSS_IJLi11EEEENSS_IJLi12EEEENSS_IJLi14EEEENSS_IJLi13EEEEEEENS5_IJNSS_IJLi1ELi2ELi3EEEESX_SY_SZ_NSS_IJLi7EEEENSS_IJLi8ELi9EEEENSS_IJLi10EEEES12_S13_S15_S14_NSS_IJLi15ELi16EEEENSS_IJLi17EEEEEEENSS_IJLi15ELi17ELi16EEEElEENSB_INS5_IJSQ_SO_SO_SQ_SG_EEENS5_IJST_SU_SV_SX_SW_EEENS5_IJNSS_IJLi1ELi2EEEESW_SX_NSS_IJLi5ELi6EEEES18_EEENSS_IJLi5ELi7ELi6EEEElEENSB_INS5_IJSK_SO_SO_EEENS5_IJST_SU_SV_EEENS5_IJS1I_SW_SX_EEENSS_IJLi3ELi4EEEElEELi128ELi128ELi16ELi2ELi4ELi4ELi1ENSS_IJLi8ELi2EEEES1S_NSS_IJLi8ELi1ELi1ELi2EEEENSS_IJLi2ELi1ELi128ELi1EEEENSS_IJLi1ELi2ELi0ELi3EEEES1V_NSS_IJLi4ELi1ELi1ELi2EEEES1V_NSS_IJLi1ELi1ELi1ELi2EEEES1T_S1U_S1V_S1V_S1W_S1V_S1X_NSS_IJLi0ELi1ELi2ELi3ELi4ELi5EEEELi5ELi4EEEDF16_NS5_IJPKDF16_EEEDF16_S8_S8_S9_NSB_INS5_IJSE_SG_SI_SG_SG_SK_SG_SM_SM_SO_SO_SQ_SG_SG_NSP_INS5_IJiNS_17integral_constantIiLi128EEEEEELb0EEENSF_INS23_IiLi2EEEEEEEENS5_IJST_SU_SV_SW_SX_SY_SZ_S10_S11_S12_S13_S14_S15_NSS_IJLi15EEEES1C_NSS_IJLi16EEEEEEENS5_IJS17_SX_SY_SZ_S18_S19_S1A_S12_S13_S15_S14_S1B_S1C_NSS_IJLi18EEEENSS_IJLi19ELi20EEEENSS_IJLi21EEEEEEENSS_IJLi18ELi19ELi20ELi21EEEElEENSB_INS5_IJSQ_SO_SO_SQ_SG_SG_S26_S28_EEENS5_IJST_SU_SV_SX_SW_SY_S18_SZ_EEENS5_IJS1I_SW_SX_S1J_S18_NSS_IJLi8EEEENSS_IJLi9ELi10EEEES12_EEENSS_IJLi8ELi9ELi10ELi11EEEElEENS5_IJNSB_INS5_IJSK_SO_SO_NSP_INS5_IJiS27_NS23_IiLi64EEEEEELb0EEES2S_EEENS5_IJST_SU_SV_SW_SX_EEENS5_IJS1I_SW_SX_NSS_IJLi5ELi6ELi7EEEENSS_IJLi8ELi9ELi10EEEEEEENSS_IJLi5ELi6ELi7ELi8ELi9ELi10EEEElEEEEES2Z_NS_31BlockToCTileMap_M00_N00_M01_N01ILi128ELi128ES1R_Lb0EEENS1_30ComputePtrOffsetOfStridedBatchILi1ELi1ELi1EvEELb1ELb1EEEvPKT0_S37_T1_PT2_T3_T4_T5_iT6_T7_T8_T9_T10_T11_, .Lfunc_end1-_ZN2ck16tensor_operation6device12_GLOBAL__N_137kernel_grouped_conv_fwd_dl_multiple_dINS_32GridwiseGemmDlMultipleD_km_kn_mnILi256EDF16_fNS_5TupleIJDF16_EEEDF16_NS0_12element_wise11PassThroughES8_NS7_7AddReluELNS_25InMemoryDataOperationEnumE0ENS_16TensorDescriptorINS5_IJNS_5EmbedINS5_IJiiiEEESD_Lb0EEENS_11PassThroughIiEENS_3PadIiiiLb0EEESG_SG_NSC_INS5_IJiiEEESJ_Lb0EEESG_NS_23Merge_v2_magic_divisionISJ_EESM_NS_8RightPadIiiLb0EEESO_NS_7UnMergeISJ_Lb0EEESG_EEENS5_IJNS_8SequenceIJLi0EEEENSS_IJLi1EEEENSS_IJLi2EEEENSS_IJLi3EEEENSS_IJLi4EEEENSS_IJLi5EEEENSS_IJLi6EEEENSS_IJLi7ELi9EEEENSS_IJLi8ELi10EEEENSS_IJLi11EEEENSS_IJLi12EEEENSS_IJLi14EEEENSS_IJLi13EEEEEEENS5_IJNSS_IJLi1ELi2ELi3EEEESX_SY_SZ_NSS_IJLi7EEEENSS_IJLi8ELi9EEEENSS_IJLi10EEEES12_S13_S15_S14_NSS_IJLi15ELi16EEEENSS_IJLi17EEEEEEENSS_IJLi15ELi17ELi16EEEElEENSB_INS5_IJSQ_SO_SO_SQ_SG_EEENS5_IJST_SU_SV_SX_SW_EEENS5_IJNSS_IJLi1ELi2EEEESW_SX_NSS_IJLi5ELi6EEEES18_EEENSS_IJLi5ELi7ELi6EEEElEENSB_INS5_IJSK_SO_SO_EEENS5_IJST_SU_SV_EEENS5_IJS1I_SW_SX_EEENSS_IJLi3ELi4EEEElEELi128ELi128ELi16ELi2ELi4ELi4ELi1ENSS_IJLi8ELi2EEEES1S_NSS_IJLi8ELi1ELi1ELi2EEEENSS_IJLi2ELi1ELi128ELi1EEEENSS_IJLi1ELi2ELi0ELi3EEEES1V_NSS_IJLi4ELi1ELi1ELi2EEEES1V_NSS_IJLi1ELi1ELi1ELi2EEEES1T_S1U_S1V_S1V_S1W_S1V_S1X_NSS_IJLi0ELi1ELi2ELi3ELi4ELi5EEEELi5ELi4EEEDF16_NS5_IJPKDF16_EEEDF16_S8_S8_S9_NSB_INS5_IJSE_SG_SI_SG_SG_SK_SG_SM_SM_SO_SO_SQ_SG_SG_NSP_INS5_IJiNS_17integral_constantIiLi128EEEEEELb0EEENSF_INS23_IiLi2EEEEEEEENS5_IJST_SU_SV_SW_SX_SY_SZ_S10_S11_S12_S13_S14_S15_NSS_IJLi15EEEES1C_NSS_IJLi16EEEEEEENS5_IJS17_SX_SY_SZ_S18_S19_S1A_S12_S13_S15_S14_S1B_S1C_NSS_IJLi18EEEENSS_IJLi19ELi20EEEENSS_IJLi21EEEEEEENSS_IJLi18ELi19ELi20ELi21EEEElEENSB_INS5_IJSQ_SO_SO_SQ_SG_SG_S26_S28_EEENS5_IJST_SU_SV_SX_SW_SY_S18_SZ_EEENS5_IJS1I_SW_SX_S1J_S18_NSS_IJLi8EEEENSS_IJLi9ELi10EEEES12_EEENSS_IJLi8ELi9ELi10ELi11EEEElEENS5_IJNSB_INS5_IJSK_SO_SO_NSP_INS5_IJiS27_NS23_IiLi64EEEEEELb0EEES2S_EEENS5_IJST_SU_SV_SW_SX_EEENS5_IJS1I_SW_SX_NSS_IJLi5ELi6ELi7EEEENSS_IJLi8ELi9ELi10EEEEEEENSS_IJLi5ELi6ELi7ELi8ELi9ELi10EEEElEEEEES2Z_NS_31BlockToCTileMap_M00_N00_M01_N01ILi128ELi128ES1R_Lb0EEENS1_30ComputePtrOffsetOfStridedBatchILi1ELi1ELi1EvEELb1ELb1EEEvPKT0_S37_T1_PT2_T3_T4_T5_iT6_T7_T8_T9_T10_T11_
                                        ; -- End function
	.set _ZN2ck16tensor_operation6device12_GLOBAL__N_137kernel_grouped_conv_fwd_dl_multiple_dINS_32GridwiseGemmDlMultipleD_km_kn_mnILi256EDF16_fNS_5TupleIJDF16_EEEDF16_NS0_12element_wise11PassThroughES8_NS7_7AddReluELNS_25InMemoryDataOperationEnumE0ENS_16TensorDescriptorINS5_IJNS_5EmbedINS5_IJiiiEEESD_Lb0EEENS_11PassThroughIiEENS_3PadIiiiLb0EEESG_SG_NSC_INS5_IJiiEEESJ_Lb0EEESG_NS_23Merge_v2_magic_divisionISJ_EESM_NS_8RightPadIiiLb0EEESO_NS_7UnMergeISJ_Lb0EEESG_EEENS5_IJNS_8SequenceIJLi0EEEENSS_IJLi1EEEENSS_IJLi2EEEENSS_IJLi3EEEENSS_IJLi4EEEENSS_IJLi5EEEENSS_IJLi6EEEENSS_IJLi7ELi9EEEENSS_IJLi8ELi10EEEENSS_IJLi11EEEENSS_IJLi12EEEENSS_IJLi14EEEENSS_IJLi13EEEEEEENS5_IJNSS_IJLi1ELi2ELi3EEEESX_SY_SZ_NSS_IJLi7EEEENSS_IJLi8ELi9EEEENSS_IJLi10EEEES12_S13_S15_S14_NSS_IJLi15ELi16EEEENSS_IJLi17EEEEEEENSS_IJLi15ELi17ELi16EEEElEENSB_INS5_IJSQ_SO_SO_SQ_SG_EEENS5_IJST_SU_SV_SX_SW_EEENS5_IJNSS_IJLi1ELi2EEEESW_SX_NSS_IJLi5ELi6EEEES18_EEENSS_IJLi5ELi7ELi6EEEElEENSB_INS5_IJSK_SO_SO_EEENS5_IJST_SU_SV_EEENS5_IJS1I_SW_SX_EEENSS_IJLi3ELi4EEEElEELi128ELi128ELi16ELi2ELi4ELi4ELi1ENSS_IJLi8ELi2EEEES1S_NSS_IJLi8ELi1ELi1ELi2EEEENSS_IJLi2ELi1ELi128ELi1EEEENSS_IJLi1ELi2ELi0ELi3EEEES1V_NSS_IJLi4ELi1ELi1ELi2EEEES1V_NSS_IJLi1ELi1ELi1ELi2EEEES1T_S1U_S1V_S1V_S1W_S1V_S1X_NSS_IJLi0ELi1ELi2ELi3ELi4ELi5EEEELi5ELi4EEEDF16_NS5_IJPKDF16_EEEDF16_S8_S8_S9_NSB_INS5_IJSE_SG_SI_SG_SG_SK_SG_SM_SM_SO_SO_SQ_SG_SG_NSP_INS5_IJiNS_17integral_constantIiLi128EEEEEELb0EEENSF_INS23_IiLi2EEEEEEEENS5_IJST_SU_SV_SW_SX_SY_SZ_S10_S11_S12_S13_S14_S15_NSS_IJLi15EEEES1C_NSS_IJLi16EEEEEEENS5_IJS17_SX_SY_SZ_S18_S19_S1A_S12_S13_S15_S14_S1B_S1C_NSS_IJLi18EEEENSS_IJLi19ELi20EEEENSS_IJLi21EEEEEEENSS_IJLi18ELi19ELi20ELi21EEEElEENSB_INS5_IJSQ_SO_SO_SQ_SG_SG_S26_S28_EEENS5_IJST_SU_SV_SX_SW_SY_S18_SZ_EEENS5_IJS1I_SW_SX_S1J_S18_NSS_IJLi8EEEENSS_IJLi9ELi10EEEES12_EEENSS_IJLi8ELi9ELi10ELi11EEEElEENS5_IJNSB_INS5_IJSK_SO_SO_NSP_INS5_IJiS27_NS23_IiLi64EEEEEELb0EEES2S_EEENS5_IJST_SU_SV_SW_SX_EEENS5_IJS1I_SW_SX_NSS_IJLi5ELi6ELi7EEEENSS_IJLi8ELi9ELi10EEEEEEENSS_IJLi5ELi6ELi7ELi8ELi9ELi10EEEElEEEEES2Z_NS_31BlockToCTileMap_M00_N00_M01_N01ILi128ELi128ES1R_Lb0EEENS1_30ComputePtrOffsetOfStridedBatchILi1ELi1ELi1EvEELb1ELb1EEEvPKT0_S37_T1_PT2_T3_T4_T5_iT6_T7_T8_T9_T10_T11_.num_vgpr, 128
	.set _ZN2ck16tensor_operation6device12_GLOBAL__N_137kernel_grouped_conv_fwd_dl_multiple_dINS_32GridwiseGemmDlMultipleD_km_kn_mnILi256EDF16_fNS_5TupleIJDF16_EEEDF16_NS0_12element_wise11PassThroughES8_NS7_7AddReluELNS_25InMemoryDataOperationEnumE0ENS_16TensorDescriptorINS5_IJNS_5EmbedINS5_IJiiiEEESD_Lb0EEENS_11PassThroughIiEENS_3PadIiiiLb0EEESG_SG_NSC_INS5_IJiiEEESJ_Lb0EEESG_NS_23Merge_v2_magic_divisionISJ_EESM_NS_8RightPadIiiLb0EEESO_NS_7UnMergeISJ_Lb0EEESG_EEENS5_IJNS_8SequenceIJLi0EEEENSS_IJLi1EEEENSS_IJLi2EEEENSS_IJLi3EEEENSS_IJLi4EEEENSS_IJLi5EEEENSS_IJLi6EEEENSS_IJLi7ELi9EEEENSS_IJLi8ELi10EEEENSS_IJLi11EEEENSS_IJLi12EEEENSS_IJLi14EEEENSS_IJLi13EEEEEEENS5_IJNSS_IJLi1ELi2ELi3EEEESX_SY_SZ_NSS_IJLi7EEEENSS_IJLi8ELi9EEEENSS_IJLi10EEEES12_S13_S15_S14_NSS_IJLi15ELi16EEEENSS_IJLi17EEEEEEENSS_IJLi15ELi17ELi16EEEElEENSB_INS5_IJSQ_SO_SO_SQ_SG_EEENS5_IJST_SU_SV_SX_SW_EEENS5_IJNSS_IJLi1ELi2EEEESW_SX_NSS_IJLi5ELi6EEEES18_EEENSS_IJLi5ELi7ELi6EEEElEENSB_INS5_IJSK_SO_SO_EEENS5_IJST_SU_SV_EEENS5_IJS1I_SW_SX_EEENSS_IJLi3ELi4EEEElEELi128ELi128ELi16ELi2ELi4ELi4ELi1ENSS_IJLi8ELi2EEEES1S_NSS_IJLi8ELi1ELi1ELi2EEEENSS_IJLi2ELi1ELi128ELi1EEEENSS_IJLi1ELi2ELi0ELi3EEEES1V_NSS_IJLi4ELi1ELi1ELi2EEEES1V_NSS_IJLi1ELi1ELi1ELi2EEEES1T_S1U_S1V_S1V_S1W_S1V_S1X_NSS_IJLi0ELi1ELi2ELi3ELi4ELi5EEEELi5ELi4EEEDF16_NS5_IJPKDF16_EEEDF16_S8_S8_S9_NSB_INS5_IJSE_SG_SI_SG_SG_SK_SG_SM_SM_SO_SO_SQ_SG_SG_NSP_INS5_IJiNS_17integral_constantIiLi128EEEEEELb0EEENSF_INS23_IiLi2EEEEEEEENS5_IJST_SU_SV_SW_SX_SY_SZ_S10_S11_S12_S13_S14_S15_NSS_IJLi15EEEES1C_NSS_IJLi16EEEEEEENS5_IJS17_SX_SY_SZ_S18_S19_S1A_S12_S13_S15_S14_S1B_S1C_NSS_IJLi18EEEENSS_IJLi19ELi20EEEENSS_IJLi21EEEEEEENSS_IJLi18ELi19ELi20ELi21EEEElEENSB_INS5_IJSQ_SO_SO_SQ_SG_SG_S26_S28_EEENS5_IJST_SU_SV_SX_SW_SY_S18_SZ_EEENS5_IJS1I_SW_SX_S1J_S18_NSS_IJLi8EEEENSS_IJLi9ELi10EEEES12_EEENSS_IJLi8ELi9ELi10ELi11EEEElEENS5_IJNSB_INS5_IJSK_SO_SO_NSP_INS5_IJiS27_NS23_IiLi64EEEEEELb0EEES2S_EEENS5_IJST_SU_SV_SW_SX_EEENS5_IJS1I_SW_SX_NSS_IJLi5ELi6ELi7EEEENSS_IJLi8ELi9ELi10EEEEEEENSS_IJLi5ELi6ELi7ELi8ELi9ELi10EEEElEEEEES2Z_NS_31BlockToCTileMap_M00_N00_M01_N01ILi128ELi128ES1R_Lb0EEENS1_30ComputePtrOffsetOfStridedBatchILi1ELi1ELi1EvEELb1ELb1EEEvPKT0_S37_T1_PT2_T3_T4_T5_iT6_T7_T8_T9_T10_T11_.num_agpr, 0
	.set _ZN2ck16tensor_operation6device12_GLOBAL__N_137kernel_grouped_conv_fwd_dl_multiple_dINS_32GridwiseGemmDlMultipleD_km_kn_mnILi256EDF16_fNS_5TupleIJDF16_EEEDF16_NS0_12element_wise11PassThroughES8_NS7_7AddReluELNS_25InMemoryDataOperationEnumE0ENS_16TensorDescriptorINS5_IJNS_5EmbedINS5_IJiiiEEESD_Lb0EEENS_11PassThroughIiEENS_3PadIiiiLb0EEESG_SG_NSC_INS5_IJiiEEESJ_Lb0EEESG_NS_23Merge_v2_magic_divisionISJ_EESM_NS_8RightPadIiiLb0EEESO_NS_7UnMergeISJ_Lb0EEESG_EEENS5_IJNS_8SequenceIJLi0EEEENSS_IJLi1EEEENSS_IJLi2EEEENSS_IJLi3EEEENSS_IJLi4EEEENSS_IJLi5EEEENSS_IJLi6EEEENSS_IJLi7ELi9EEEENSS_IJLi8ELi10EEEENSS_IJLi11EEEENSS_IJLi12EEEENSS_IJLi14EEEENSS_IJLi13EEEEEEENS5_IJNSS_IJLi1ELi2ELi3EEEESX_SY_SZ_NSS_IJLi7EEEENSS_IJLi8ELi9EEEENSS_IJLi10EEEES12_S13_S15_S14_NSS_IJLi15ELi16EEEENSS_IJLi17EEEEEEENSS_IJLi15ELi17ELi16EEEElEENSB_INS5_IJSQ_SO_SO_SQ_SG_EEENS5_IJST_SU_SV_SX_SW_EEENS5_IJNSS_IJLi1ELi2EEEESW_SX_NSS_IJLi5ELi6EEEES18_EEENSS_IJLi5ELi7ELi6EEEElEENSB_INS5_IJSK_SO_SO_EEENS5_IJST_SU_SV_EEENS5_IJS1I_SW_SX_EEENSS_IJLi3ELi4EEEElEELi128ELi128ELi16ELi2ELi4ELi4ELi1ENSS_IJLi8ELi2EEEES1S_NSS_IJLi8ELi1ELi1ELi2EEEENSS_IJLi2ELi1ELi128ELi1EEEENSS_IJLi1ELi2ELi0ELi3EEEES1V_NSS_IJLi4ELi1ELi1ELi2EEEES1V_NSS_IJLi1ELi1ELi1ELi2EEEES1T_S1U_S1V_S1V_S1W_S1V_S1X_NSS_IJLi0ELi1ELi2ELi3ELi4ELi5EEEELi5ELi4EEEDF16_NS5_IJPKDF16_EEEDF16_S8_S8_S9_NSB_INS5_IJSE_SG_SI_SG_SG_SK_SG_SM_SM_SO_SO_SQ_SG_SG_NSP_INS5_IJiNS_17integral_constantIiLi128EEEEEELb0EEENSF_INS23_IiLi2EEEEEEEENS5_IJST_SU_SV_SW_SX_SY_SZ_S10_S11_S12_S13_S14_S15_NSS_IJLi15EEEES1C_NSS_IJLi16EEEEEEENS5_IJS17_SX_SY_SZ_S18_S19_S1A_S12_S13_S15_S14_S1B_S1C_NSS_IJLi18EEEENSS_IJLi19ELi20EEEENSS_IJLi21EEEEEEENSS_IJLi18ELi19ELi20ELi21EEEElEENSB_INS5_IJSQ_SO_SO_SQ_SG_SG_S26_S28_EEENS5_IJST_SU_SV_SX_SW_SY_S18_SZ_EEENS5_IJS1I_SW_SX_S1J_S18_NSS_IJLi8EEEENSS_IJLi9ELi10EEEES12_EEENSS_IJLi8ELi9ELi10ELi11EEEElEENS5_IJNSB_INS5_IJSK_SO_SO_NSP_INS5_IJiS27_NS23_IiLi64EEEEEELb0EEES2S_EEENS5_IJST_SU_SV_SW_SX_EEENS5_IJS1I_SW_SX_NSS_IJLi5ELi6ELi7EEEENSS_IJLi8ELi9ELi10EEEEEEENSS_IJLi5ELi6ELi7ELi8ELi9ELi10EEEElEEEEES2Z_NS_31BlockToCTileMap_M00_N00_M01_N01ILi128ELi128ES1R_Lb0EEENS1_30ComputePtrOffsetOfStridedBatchILi1ELi1ELi1EvEELb1ELb1EEEvPKT0_S37_T1_PT2_T3_T4_T5_iT6_T7_T8_T9_T10_T11_.numbered_sgpr, 62
	.set _ZN2ck16tensor_operation6device12_GLOBAL__N_137kernel_grouped_conv_fwd_dl_multiple_dINS_32GridwiseGemmDlMultipleD_km_kn_mnILi256EDF16_fNS_5TupleIJDF16_EEEDF16_NS0_12element_wise11PassThroughES8_NS7_7AddReluELNS_25InMemoryDataOperationEnumE0ENS_16TensorDescriptorINS5_IJNS_5EmbedINS5_IJiiiEEESD_Lb0EEENS_11PassThroughIiEENS_3PadIiiiLb0EEESG_SG_NSC_INS5_IJiiEEESJ_Lb0EEESG_NS_23Merge_v2_magic_divisionISJ_EESM_NS_8RightPadIiiLb0EEESO_NS_7UnMergeISJ_Lb0EEESG_EEENS5_IJNS_8SequenceIJLi0EEEENSS_IJLi1EEEENSS_IJLi2EEEENSS_IJLi3EEEENSS_IJLi4EEEENSS_IJLi5EEEENSS_IJLi6EEEENSS_IJLi7ELi9EEEENSS_IJLi8ELi10EEEENSS_IJLi11EEEENSS_IJLi12EEEENSS_IJLi14EEEENSS_IJLi13EEEEEEENS5_IJNSS_IJLi1ELi2ELi3EEEESX_SY_SZ_NSS_IJLi7EEEENSS_IJLi8ELi9EEEENSS_IJLi10EEEES12_S13_S15_S14_NSS_IJLi15ELi16EEEENSS_IJLi17EEEEEEENSS_IJLi15ELi17ELi16EEEElEENSB_INS5_IJSQ_SO_SO_SQ_SG_EEENS5_IJST_SU_SV_SX_SW_EEENS5_IJNSS_IJLi1ELi2EEEESW_SX_NSS_IJLi5ELi6EEEES18_EEENSS_IJLi5ELi7ELi6EEEElEENSB_INS5_IJSK_SO_SO_EEENS5_IJST_SU_SV_EEENS5_IJS1I_SW_SX_EEENSS_IJLi3ELi4EEEElEELi128ELi128ELi16ELi2ELi4ELi4ELi1ENSS_IJLi8ELi2EEEES1S_NSS_IJLi8ELi1ELi1ELi2EEEENSS_IJLi2ELi1ELi128ELi1EEEENSS_IJLi1ELi2ELi0ELi3EEEES1V_NSS_IJLi4ELi1ELi1ELi2EEEES1V_NSS_IJLi1ELi1ELi1ELi2EEEES1T_S1U_S1V_S1V_S1W_S1V_S1X_NSS_IJLi0ELi1ELi2ELi3ELi4ELi5EEEELi5ELi4EEEDF16_NS5_IJPKDF16_EEEDF16_S8_S8_S9_NSB_INS5_IJSE_SG_SI_SG_SG_SK_SG_SM_SM_SO_SO_SQ_SG_SG_NSP_INS5_IJiNS_17integral_constantIiLi128EEEEEELb0EEENSF_INS23_IiLi2EEEEEEEENS5_IJST_SU_SV_SW_SX_SY_SZ_S10_S11_S12_S13_S14_S15_NSS_IJLi15EEEES1C_NSS_IJLi16EEEEEEENS5_IJS17_SX_SY_SZ_S18_S19_S1A_S12_S13_S15_S14_S1B_S1C_NSS_IJLi18EEEENSS_IJLi19ELi20EEEENSS_IJLi21EEEEEEENSS_IJLi18ELi19ELi20ELi21EEEElEENSB_INS5_IJSQ_SO_SO_SQ_SG_SG_S26_S28_EEENS5_IJST_SU_SV_SX_SW_SY_S18_SZ_EEENS5_IJS1I_SW_SX_S1J_S18_NSS_IJLi8EEEENSS_IJLi9ELi10EEEES12_EEENSS_IJLi8ELi9ELi10ELi11EEEElEENS5_IJNSB_INS5_IJSK_SO_SO_NSP_INS5_IJiS27_NS23_IiLi64EEEEEELb0EEES2S_EEENS5_IJST_SU_SV_SW_SX_EEENS5_IJS1I_SW_SX_NSS_IJLi5ELi6ELi7EEEENSS_IJLi8ELi9ELi10EEEEEEENSS_IJLi5ELi6ELi7ELi8ELi9ELi10EEEElEEEEES2Z_NS_31BlockToCTileMap_M00_N00_M01_N01ILi128ELi128ES1R_Lb0EEENS1_30ComputePtrOffsetOfStridedBatchILi1ELi1ELi1EvEELb1ELb1EEEvPKT0_S37_T1_PT2_T3_T4_T5_iT6_T7_T8_T9_T10_T11_.num_named_barrier, 0
	.set _ZN2ck16tensor_operation6device12_GLOBAL__N_137kernel_grouped_conv_fwd_dl_multiple_dINS_32GridwiseGemmDlMultipleD_km_kn_mnILi256EDF16_fNS_5TupleIJDF16_EEEDF16_NS0_12element_wise11PassThroughES8_NS7_7AddReluELNS_25InMemoryDataOperationEnumE0ENS_16TensorDescriptorINS5_IJNS_5EmbedINS5_IJiiiEEESD_Lb0EEENS_11PassThroughIiEENS_3PadIiiiLb0EEESG_SG_NSC_INS5_IJiiEEESJ_Lb0EEESG_NS_23Merge_v2_magic_divisionISJ_EESM_NS_8RightPadIiiLb0EEESO_NS_7UnMergeISJ_Lb0EEESG_EEENS5_IJNS_8SequenceIJLi0EEEENSS_IJLi1EEEENSS_IJLi2EEEENSS_IJLi3EEEENSS_IJLi4EEEENSS_IJLi5EEEENSS_IJLi6EEEENSS_IJLi7ELi9EEEENSS_IJLi8ELi10EEEENSS_IJLi11EEEENSS_IJLi12EEEENSS_IJLi14EEEENSS_IJLi13EEEEEEENS5_IJNSS_IJLi1ELi2ELi3EEEESX_SY_SZ_NSS_IJLi7EEEENSS_IJLi8ELi9EEEENSS_IJLi10EEEES12_S13_S15_S14_NSS_IJLi15ELi16EEEENSS_IJLi17EEEEEEENSS_IJLi15ELi17ELi16EEEElEENSB_INS5_IJSQ_SO_SO_SQ_SG_EEENS5_IJST_SU_SV_SX_SW_EEENS5_IJNSS_IJLi1ELi2EEEESW_SX_NSS_IJLi5ELi6EEEES18_EEENSS_IJLi5ELi7ELi6EEEElEENSB_INS5_IJSK_SO_SO_EEENS5_IJST_SU_SV_EEENS5_IJS1I_SW_SX_EEENSS_IJLi3ELi4EEEElEELi128ELi128ELi16ELi2ELi4ELi4ELi1ENSS_IJLi8ELi2EEEES1S_NSS_IJLi8ELi1ELi1ELi2EEEENSS_IJLi2ELi1ELi128ELi1EEEENSS_IJLi1ELi2ELi0ELi3EEEES1V_NSS_IJLi4ELi1ELi1ELi2EEEES1V_NSS_IJLi1ELi1ELi1ELi2EEEES1T_S1U_S1V_S1V_S1W_S1V_S1X_NSS_IJLi0ELi1ELi2ELi3ELi4ELi5EEEELi5ELi4EEEDF16_NS5_IJPKDF16_EEEDF16_S8_S8_S9_NSB_INS5_IJSE_SG_SI_SG_SG_SK_SG_SM_SM_SO_SO_SQ_SG_SG_NSP_INS5_IJiNS_17integral_constantIiLi128EEEEEELb0EEENSF_INS23_IiLi2EEEEEEEENS5_IJST_SU_SV_SW_SX_SY_SZ_S10_S11_S12_S13_S14_S15_NSS_IJLi15EEEES1C_NSS_IJLi16EEEEEEENS5_IJS17_SX_SY_SZ_S18_S19_S1A_S12_S13_S15_S14_S1B_S1C_NSS_IJLi18EEEENSS_IJLi19ELi20EEEENSS_IJLi21EEEEEEENSS_IJLi18ELi19ELi20ELi21EEEElEENSB_INS5_IJSQ_SO_SO_SQ_SG_SG_S26_S28_EEENS5_IJST_SU_SV_SX_SW_SY_S18_SZ_EEENS5_IJS1I_SW_SX_S1J_S18_NSS_IJLi8EEEENSS_IJLi9ELi10EEEES12_EEENSS_IJLi8ELi9ELi10ELi11EEEElEENS5_IJNSB_INS5_IJSK_SO_SO_NSP_INS5_IJiS27_NS23_IiLi64EEEEEELb0EEES2S_EEENS5_IJST_SU_SV_SW_SX_EEENS5_IJS1I_SW_SX_NSS_IJLi5ELi6ELi7EEEENSS_IJLi8ELi9ELi10EEEEEEENSS_IJLi5ELi6ELi7ELi8ELi9ELi10EEEElEEEEES2Z_NS_31BlockToCTileMap_M00_N00_M01_N01ILi128ELi128ES1R_Lb0EEENS1_30ComputePtrOffsetOfStridedBatchILi1ELi1ELi1EvEELb1ELb1EEEvPKT0_S37_T1_PT2_T3_T4_T5_iT6_T7_T8_T9_T10_T11_.private_seg_size, 0
	.set _ZN2ck16tensor_operation6device12_GLOBAL__N_137kernel_grouped_conv_fwd_dl_multiple_dINS_32GridwiseGemmDlMultipleD_km_kn_mnILi256EDF16_fNS_5TupleIJDF16_EEEDF16_NS0_12element_wise11PassThroughES8_NS7_7AddReluELNS_25InMemoryDataOperationEnumE0ENS_16TensorDescriptorINS5_IJNS_5EmbedINS5_IJiiiEEESD_Lb0EEENS_11PassThroughIiEENS_3PadIiiiLb0EEESG_SG_NSC_INS5_IJiiEEESJ_Lb0EEESG_NS_23Merge_v2_magic_divisionISJ_EESM_NS_8RightPadIiiLb0EEESO_NS_7UnMergeISJ_Lb0EEESG_EEENS5_IJNS_8SequenceIJLi0EEEENSS_IJLi1EEEENSS_IJLi2EEEENSS_IJLi3EEEENSS_IJLi4EEEENSS_IJLi5EEEENSS_IJLi6EEEENSS_IJLi7ELi9EEEENSS_IJLi8ELi10EEEENSS_IJLi11EEEENSS_IJLi12EEEENSS_IJLi14EEEENSS_IJLi13EEEEEEENS5_IJNSS_IJLi1ELi2ELi3EEEESX_SY_SZ_NSS_IJLi7EEEENSS_IJLi8ELi9EEEENSS_IJLi10EEEES12_S13_S15_S14_NSS_IJLi15ELi16EEEENSS_IJLi17EEEEEEENSS_IJLi15ELi17ELi16EEEElEENSB_INS5_IJSQ_SO_SO_SQ_SG_EEENS5_IJST_SU_SV_SX_SW_EEENS5_IJNSS_IJLi1ELi2EEEESW_SX_NSS_IJLi5ELi6EEEES18_EEENSS_IJLi5ELi7ELi6EEEElEENSB_INS5_IJSK_SO_SO_EEENS5_IJST_SU_SV_EEENS5_IJS1I_SW_SX_EEENSS_IJLi3ELi4EEEElEELi128ELi128ELi16ELi2ELi4ELi4ELi1ENSS_IJLi8ELi2EEEES1S_NSS_IJLi8ELi1ELi1ELi2EEEENSS_IJLi2ELi1ELi128ELi1EEEENSS_IJLi1ELi2ELi0ELi3EEEES1V_NSS_IJLi4ELi1ELi1ELi2EEEES1V_NSS_IJLi1ELi1ELi1ELi2EEEES1T_S1U_S1V_S1V_S1W_S1V_S1X_NSS_IJLi0ELi1ELi2ELi3ELi4ELi5EEEELi5ELi4EEEDF16_NS5_IJPKDF16_EEEDF16_S8_S8_S9_NSB_INS5_IJSE_SG_SI_SG_SG_SK_SG_SM_SM_SO_SO_SQ_SG_SG_NSP_INS5_IJiNS_17integral_constantIiLi128EEEEEELb0EEENSF_INS23_IiLi2EEEEEEEENS5_IJST_SU_SV_SW_SX_SY_SZ_S10_S11_S12_S13_S14_S15_NSS_IJLi15EEEES1C_NSS_IJLi16EEEEEEENS5_IJS17_SX_SY_SZ_S18_S19_S1A_S12_S13_S15_S14_S1B_S1C_NSS_IJLi18EEEENSS_IJLi19ELi20EEEENSS_IJLi21EEEEEEENSS_IJLi18ELi19ELi20ELi21EEEElEENSB_INS5_IJSQ_SO_SO_SQ_SG_SG_S26_S28_EEENS5_IJST_SU_SV_SX_SW_SY_S18_SZ_EEENS5_IJS1I_SW_SX_S1J_S18_NSS_IJLi8EEEENSS_IJLi9ELi10EEEES12_EEENSS_IJLi8ELi9ELi10ELi11EEEElEENS5_IJNSB_INS5_IJSK_SO_SO_NSP_INS5_IJiS27_NS23_IiLi64EEEEEELb0EEES2S_EEENS5_IJST_SU_SV_SW_SX_EEENS5_IJS1I_SW_SX_NSS_IJLi5ELi6ELi7EEEENSS_IJLi8ELi9ELi10EEEEEEENSS_IJLi5ELi6ELi7ELi8ELi9ELi10EEEElEEEEES2Z_NS_31BlockToCTileMap_M00_N00_M01_N01ILi128ELi128ES1R_Lb0EEENS1_30ComputePtrOffsetOfStridedBatchILi1ELi1ELi1EvEELb1ELb1EEEvPKT0_S37_T1_PT2_T3_T4_T5_iT6_T7_T8_T9_T10_T11_.uses_vcc, 1
	.set _ZN2ck16tensor_operation6device12_GLOBAL__N_137kernel_grouped_conv_fwd_dl_multiple_dINS_32GridwiseGemmDlMultipleD_km_kn_mnILi256EDF16_fNS_5TupleIJDF16_EEEDF16_NS0_12element_wise11PassThroughES8_NS7_7AddReluELNS_25InMemoryDataOperationEnumE0ENS_16TensorDescriptorINS5_IJNS_5EmbedINS5_IJiiiEEESD_Lb0EEENS_11PassThroughIiEENS_3PadIiiiLb0EEESG_SG_NSC_INS5_IJiiEEESJ_Lb0EEESG_NS_23Merge_v2_magic_divisionISJ_EESM_NS_8RightPadIiiLb0EEESO_NS_7UnMergeISJ_Lb0EEESG_EEENS5_IJNS_8SequenceIJLi0EEEENSS_IJLi1EEEENSS_IJLi2EEEENSS_IJLi3EEEENSS_IJLi4EEEENSS_IJLi5EEEENSS_IJLi6EEEENSS_IJLi7ELi9EEEENSS_IJLi8ELi10EEEENSS_IJLi11EEEENSS_IJLi12EEEENSS_IJLi14EEEENSS_IJLi13EEEEEEENS5_IJNSS_IJLi1ELi2ELi3EEEESX_SY_SZ_NSS_IJLi7EEEENSS_IJLi8ELi9EEEENSS_IJLi10EEEES12_S13_S15_S14_NSS_IJLi15ELi16EEEENSS_IJLi17EEEEEEENSS_IJLi15ELi17ELi16EEEElEENSB_INS5_IJSQ_SO_SO_SQ_SG_EEENS5_IJST_SU_SV_SX_SW_EEENS5_IJNSS_IJLi1ELi2EEEESW_SX_NSS_IJLi5ELi6EEEES18_EEENSS_IJLi5ELi7ELi6EEEElEENSB_INS5_IJSK_SO_SO_EEENS5_IJST_SU_SV_EEENS5_IJS1I_SW_SX_EEENSS_IJLi3ELi4EEEElEELi128ELi128ELi16ELi2ELi4ELi4ELi1ENSS_IJLi8ELi2EEEES1S_NSS_IJLi8ELi1ELi1ELi2EEEENSS_IJLi2ELi1ELi128ELi1EEEENSS_IJLi1ELi2ELi0ELi3EEEES1V_NSS_IJLi4ELi1ELi1ELi2EEEES1V_NSS_IJLi1ELi1ELi1ELi2EEEES1T_S1U_S1V_S1V_S1W_S1V_S1X_NSS_IJLi0ELi1ELi2ELi3ELi4ELi5EEEELi5ELi4EEEDF16_NS5_IJPKDF16_EEEDF16_S8_S8_S9_NSB_INS5_IJSE_SG_SI_SG_SG_SK_SG_SM_SM_SO_SO_SQ_SG_SG_NSP_INS5_IJiNS_17integral_constantIiLi128EEEEEELb0EEENSF_INS23_IiLi2EEEEEEEENS5_IJST_SU_SV_SW_SX_SY_SZ_S10_S11_S12_S13_S14_S15_NSS_IJLi15EEEES1C_NSS_IJLi16EEEEEEENS5_IJS17_SX_SY_SZ_S18_S19_S1A_S12_S13_S15_S14_S1B_S1C_NSS_IJLi18EEEENSS_IJLi19ELi20EEEENSS_IJLi21EEEEEEENSS_IJLi18ELi19ELi20ELi21EEEElEENSB_INS5_IJSQ_SO_SO_SQ_SG_SG_S26_S28_EEENS5_IJST_SU_SV_SX_SW_SY_S18_SZ_EEENS5_IJS1I_SW_SX_S1J_S18_NSS_IJLi8EEEENSS_IJLi9ELi10EEEES12_EEENSS_IJLi8ELi9ELi10ELi11EEEElEENS5_IJNSB_INS5_IJSK_SO_SO_NSP_INS5_IJiS27_NS23_IiLi64EEEEEELb0EEES2S_EEENS5_IJST_SU_SV_SW_SX_EEENS5_IJS1I_SW_SX_NSS_IJLi5ELi6ELi7EEEENSS_IJLi8ELi9ELi10EEEEEEENSS_IJLi5ELi6ELi7ELi8ELi9ELi10EEEElEEEEES2Z_NS_31BlockToCTileMap_M00_N00_M01_N01ILi128ELi128ES1R_Lb0EEENS1_30ComputePtrOffsetOfStridedBatchILi1ELi1ELi1EvEELb1ELb1EEEvPKT0_S37_T1_PT2_T3_T4_T5_iT6_T7_T8_T9_T10_T11_.uses_flat_scratch, 0
	.set _ZN2ck16tensor_operation6device12_GLOBAL__N_137kernel_grouped_conv_fwd_dl_multiple_dINS_32GridwiseGemmDlMultipleD_km_kn_mnILi256EDF16_fNS_5TupleIJDF16_EEEDF16_NS0_12element_wise11PassThroughES8_NS7_7AddReluELNS_25InMemoryDataOperationEnumE0ENS_16TensorDescriptorINS5_IJNS_5EmbedINS5_IJiiiEEESD_Lb0EEENS_11PassThroughIiEENS_3PadIiiiLb0EEESG_SG_NSC_INS5_IJiiEEESJ_Lb0EEESG_NS_23Merge_v2_magic_divisionISJ_EESM_NS_8RightPadIiiLb0EEESO_NS_7UnMergeISJ_Lb0EEESG_EEENS5_IJNS_8SequenceIJLi0EEEENSS_IJLi1EEEENSS_IJLi2EEEENSS_IJLi3EEEENSS_IJLi4EEEENSS_IJLi5EEEENSS_IJLi6EEEENSS_IJLi7ELi9EEEENSS_IJLi8ELi10EEEENSS_IJLi11EEEENSS_IJLi12EEEENSS_IJLi14EEEENSS_IJLi13EEEEEEENS5_IJNSS_IJLi1ELi2ELi3EEEESX_SY_SZ_NSS_IJLi7EEEENSS_IJLi8ELi9EEEENSS_IJLi10EEEES12_S13_S15_S14_NSS_IJLi15ELi16EEEENSS_IJLi17EEEEEEENSS_IJLi15ELi17ELi16EEEElEENSB_INS5_IJSQ_SO_SO_SQ_SG_EEENS5_IJST_SU_SV_SX_SW_EEENS5_IJNSS_IJLi1ELi2EEEESW_SX_NSS_IJLi5ELi6EEEES18_EEENSS_IJLi5ELi7ELi6EEEElEENSB_INS5_IJSK_SO_SO_EEENS5_IJST_SU_SV_EEENS5_IJS1I_SW_SX_EEENSS_IJLi3ELi4EEEElEELi128ELi128ELi16ELi2ELi4ELi4ELi1ENSS_IJLi8ELi2EEEES1S_NSS_IJLi8ELi1ELi1ELi2EEEENSS_IJLi2ELi1ELi128ELi1EEEENSS_IJLi1ELi2ELi0ELi3EEEES1V_NSS_IJLi4ELi1ELi1ELi2EEEES1V_NSS_IJLi1ELi1ELi1ELi2EEEES1T_S1U_S1V_S1V_S1W_S1V_S1X_NSS_IJLi0ELi1ELi2ELi3ELi4ELi5EEEELi5ELi4EEEDF16_NS5_IJPKDF16_EEEDF16_S8_S8_S9_NSB_INS5_IJSE_SG_SI_SG_SG_SK_SG_SM_SM_SO_SO_SQ_SG_SG_NSP_INS5_IJiNS_17integral_constantIiLi128EEEEEELb0EEENSF_INS23_IiLi2EEEEEEEENS5_IJST_SU_SV_SW_SX_SY_SZ_S10_S11_S12_S13_S14_S15_NSS_IJLi15EEEES1C_NSS_IJLi16EEEEEEENS5_IJS17_SX_SY_SZ_S18_S19_S1A_S12_S13_S15_S14_S1B_S1C_NSS_IJLi18EEEENSS_IJLi19ELi20EEEENSS_IJLi21EEEEEEENSS_IJLi18ELi19ELi20ELi21EEEElEENSB_INS5_IJSQ_SO_SO_SQ_SG_SG_S26_S28_EEENS5_IJST_SU_SV_SX_SW_SY_S18_SZ_EEENS5_IJS1I_SW_SX_S1J_S18_NSS_IJLi8EEEENSS_IJLi9ELi10EEEES12_EEENSS_IJLi8ELi9ELi10ELi11EEEElEENS5_IJNSB_INS5_IJSK_SO_SO_NSP_INS5_IJiS27_NS23_IiLi64EEEEEELb0EEES2S_EEENS5_IJST_SU_SV_SW_SX_EEENS5_IJS1I_SW_SX_NSS_IJLi5ELi6ELi7EEEENSS_IJLi8ELi9ELi10EEEEEEENSS_IJLi5ELi6ELi7ELi8ELi9ELi10EEEElEEEEES2Z_NS_31BlockToCTileMap_M00_N00_M01_N01ILi128ELi128ES1R_Lb0EEENS1_30ComputePtrOffsetOfStridedBatchILi1ELi1ELi1EvEELb1ELb1EEEvPKT0_S37_T1_PT2_T3_T4_T5_iT6_T7_T8_T9_T10_T11_.has_dyn_sized_stack, 0
	.set _ZN2ck16tensor_operation6device12_GLOBAL__N_137kernel_grouped_conv_fwd_dl_multiple_dINS_32GridwiseGemmDlMultipleD_km_kn_mnILi256EDF16_fNS_5TupleIJDF16_EEEDF16_NS0_12element_wise11PassThroughES8_NS7_7AddReluELNS_25InMemoryDataOperationEnumE0ENS_16TensorDescriptorINS5_IJNS_5EmbedINS5_IJiiiEEESD_Lb0EEENS_11PassThroughIiEENS_3PadIiiiLb0EEESG_SG_NSC_INS5_IJiiEEESJ_Lb0EEESG_NS_23Merge_v2_magic_divisionISJ_EESM_NS_8RightPadIiiLb0EEESO_NS_7UnMergeISJ_Lb0EEESG_EEENS5_IJNS_8SequenceIJLi0EEEENSS_IJLi1EEEENSS_IJLi2EEEENSS_IJLi3EEEENSS_IJLi4EEEENSS_IJLi5EEEENSS_IJLi6EEEENSS_IJLi7ELi9EEEENSS_IJLi8ELi10EEEENSS_IJLi11EEEENSS_IJLi12EEEENSS_IJLi14EEEENSS_IJLi13EEEEEEENS5_IJNSS_IJLi1ELi2ELi3EEEESX_SY_SZ_NSS_IJLi7EEEENSS_IJLi8ELi9EEEENSS_IJLi10EEEES12_S13_S15_S14_NSS_IJLi15ELi16EEEENSS_IJLi17EEEEEEENSS_IJLi15ELi17ELi16EEEElEENSB_INS5_IJSQ_SO_SO_SQ_SG_EEENS5_IJST_SU_SV_SX_SW_EEENS5_IJNSS_IJLi1ELi2EEEESW_SX_NSS_IJLi5ELi6EEEES18_EEENSS_IJLi5ELi7ELi6EEEElEENSB_INS5_IJSK_SO_SO_EEENS5_IJST_SU_SV_EEENS5_IJS1I_SW_SX_EEENSS_IJLi3ELi4EEEElEELi128ELi128ELi16ELi2ELi4ELi4ELi1ENSS_IJLi8ELi2EEEES1S_NSS_IJLi8ELi1ELi1ELi2EEEENSS_IJLi2ELi1ELi128ELi1EEEENSS_IJLi1ELi2ELi0ELi3EEEES1V_NSS_IJLi4ELi1ELi1ELi2EEEES1V_NSS_IJLi1ELi1ELi1ELi2EEEES1T_S1U_S1V_S1V_S1W_S1V_S1X_NSS_IJLi0ELi1ELi2ELi3ELi4ELi5EEEELi5ELi4EEEDF16_NS5_IJPKDF16_EEEDF16_S8_S8_S9_NSB_INS5_IJSE_SG_SI_SG_SG_SK_SG_SM_SM_SO_SO_SQ_SG_SG_NSP_INS5_IJiNS_17integral_constantIiLi128EEEEEELb0EEENSF_INS23_IiLi2EEEEEEEENS5_IJST_SU_SV_SW_SX_SY_SZ_S10_S11_S12_S13_S14_S15_NSS_IJLi15EEEES1C_NSS_IJLi16EEEEEEENS5_IJS17_SX_SY_SZ_S18_S19_S1A_S12_S13_S15_S14_S1B_S1C_NSS_IJLi18EEEENSS_IJLi19ELi20EEEENSS_IJLi21EEEEEEENSS_IJLi18ELi19ELi20ELi21EEEElEENSB_INS5_IJSQ_SO_SO_SQ_SG_SG_S26_S28_EEENS5_IJST_SU_SV_SX_SW_SY_S18_SZ_EEENS5_IJS1I_SW_SX_S1J_S18_NSS_IJLi8EEEENSS_IJLi9ELi10EEEES12_EEENSS_IJLi8ELi9ELi10ELi11EEEElEENS5_IJNSB_INS5_IJSK_SO_SO_NSP_INS5_IJiS27_NS23_IiLi64EEEEEELb0EEES2S_EEENS5_IJST_SU_SV_SW_SX_EEENS5_IJS1I_SW_SX_NSS_IJLi5ELi6ELi7EEEENSS_IJLi8ELi9ELi10EEEEEEENSS_IJLi5ELi6ELi7ELi8ELi9ELi10EEEElEEEEES2Z_NS_31BlockToCTileMap_M00_N00_M01_N01ILi128ELi128ES1R_Lb0EEENS1_30ComputePtrOffsetOfStridedBatchILi1ELi1ELi1EvEELb1ELb1EEEvPKT0_S37_T1_PT2_T3_T4_T5_iT6_T7_T8_T9_T10_T11_.has_recursion, 0
	.set _ZN2ck16tensor_operation6device12_GLOBAL__N_137kernel_grouped_conv_fwd_dl_multiple_dINS_32GridwiseGemmDlMultipleD_km_kn_mnILi256EDF16_fNS_5TupleIJDF16_EEEDF16_NS0_12element_wise11PassThroughES8_NS7_7AddReluELNS_25InMemoryDataOperationEnumE0ENS_16TensorDescriptorINS5_IJNS_5EmbedINS5_IJiiiEEESD_Lb0EEENS_11PassThroughIiEENS_3PadIiiiLb0EEESG_SG_NSC_INS5_IJiiEEESJ_Lb0EEESG_NS_23Merge_v2_magic_divisionISJ_EESM_NS_8RightPadIiiLb0EEESO_NS_7UnMergeISJ_Lb0EEESG_EEENS5_IJNS_8SequenceIJLi0EEEENSS_IJLi1EEEENSS_IJLi2EEEENSS_IJLi3EEEENSS_IJLi4EEEENSS_IJLi5EEEENSS_IJLi6EEEENSS_IJLi7ELi9EEEENSS_IJLi8ELi10EEEENSS_IJLi11EEEENSS_IJLi12EEEENSS_IJLi14EEEENSS_IJLi13EEEEEEENS5_IJNSS_IJLi1ELi2ELi3EEEESX_SY_SZ_NSS_IJLi7EEEENSS_IJLi8ELi9EEEENSS_IJLi10EEEES12_S13_S15_S14_NSS_IJLi15ELi16EEEENSS_IJLi17EEEEEEENSS_IJLi15ELi17ELi16EEEElEENSB_INS5_IJSQ_SO_SO_SQ_SG_EEENS5_IJST_SU_SV_SX_SW_EEENS5_IJNSS_IJLi1ELi2EEEESW_SX_NSS_IJLi5ELi6EEEES18_EEENSS_IJLi5ELi7ELi6EEEElEENSB_INS5_IJSK_SO_SO_EEENS5_IJST_SU_SV_EEENS5_IJS1I_SW_SX_EEENSS_IJLi3ELi4EEEElEELi128ELi128ELi16ELi2ELi4ELi4ELi1ENSS_IJLi8ELi2EEEES1S_NSS_IJLi8ELi1ELi1ELi2EEEENSS_IJLi2ELi1ELi128ELi1EEEENSS_IJLi1ELi2ELi0ELi3EEEES1V_NSS_IJLi4ELi1ELi1ELi2EEEES1V_NSS_IJLi1ELi1ELi1ELi2EEEES1T_S1U_S1V_S1V_S1W_S1V_S1X_NSS_IJLi0ELi1ELi2ELi3ELi4ELi5EEEELi5ELi4EEEDF16_NS5_IJPKDF16_EEEDF16_S8_S8_S9_NSB_INS5_IJSE_SG_SI_SG_SG_SK_SG_SM_SM_SO_SO_SQ_SG_SG_NSP_INS5_IJiNS_17integral_constantIiLi128EEEEEELb0EEENSF_INS23_IiLi2EEEEEEEENS5_IJST_SU_SV_SW_SX_SY_SZ_S10_S11_S12_S13_S14_S15_NSS_IJLi15EEEES1C_NSS_IJLi16EEEEEEENS5_IJS17_SX_SY_SZ_S18_S19_S1A_S12_S13_S15_S14_S1B_S1C_NSS_IJLi18EEEENSS_IJLi19ELi20EEEENSS_IJLi21EEEEEEENSS_IJLi18ELi19ELi20ELi21EEEElEENSB_INS5_IJSQ_SO_SO_SQ_SG_SG_S26_S28_EEENS5_IJST_SU_SV_SX_SW_SY_S18_SZ_EEENS5_IJS1I_SW_SX_S1J_S18_NSS_IJLi8EEEENSS_IJLi9ELi10EEEES12_EEENSS_IJLi8ELi9ELi10ELi11EEEElEENS5_IJNSB_INS5_IJSK_SO_SO_NSP_INS5_IJiS27_NS23_IiLi64EEEEEELb0EEES2S_EEENS5_IJST_SU_SV_SW_SX_EEENS5_IJS1I_SW_SX_NSS_IJLi5ELi6ELi7EEEENSS_IJLi8ELi9ELi10EEEEEEENSS_IJLi5ELi6ELi7ELi8ELi9ELi10EEEElEEEEES2Z_NS_31BlockToCTileMap_M00_N00_M01_N01ILi128ELi128ES1R_Lb0EEENS1_30ComputePtrOffsetOfStridedBatchILi1ELi1ELi1EvEELb1ELb1EEEvPKT0_S37_T1_PT2_T3_T4_T5_iT6_T7_T8_T9_T10_T11_.has_indirect_call, 0
	.section	.AMDGPU.csdata,"",@progbits
; Kernel info:
; codeLenInByte = 25704
; TotalNumSgprs: 64
; NumVgprs: 128
; ScratchSize: 0
; MemoryBound: 0
; FloatMode: 240
; IeeeMode: 1
; LDSByteSize: 32768 bytes/workgroup (compile time only)
; SGPRBlocks: 0
; VGPRBlocks: 15
; NumSGPRsForWavesPerEU: 64
; NumVGPRsForWavesPerEU: 128
; Occupancy: 8
; WaveLimiterHint : 0
; COMPUTE_PGM_RSRC2:SCRATCH_EN: 0
; COMPUTE_PGM_RSRC2:USER_SGPR: 6
; COMPUTE_PGM_RSRC2:TRAP_HANDLER: 0
; COMPUTE_PGM_RSRC2:TGID_X_EN: 1
; COMPUTE_PGM_RSRC2:TGID_Y_EN: 0
; COMPUTE_PGM_RSRC2:TGID_Z_EN: 0
; COMPUTE_PGM_RSRC2:TIDIG_COMP_CNT: 0
	.section	.text._ZN2ck16tensor_operation6device12_GLOBAL__N_137kernel_grouped_conv_fwd_dl_multiple_dINS_32GridwiseGemmDlMultipleD_km_kn_mnILi256EDF16_fNS_5TupleIJDF16_EEEDF16_NS0_12element_wise11PassThroughES8_NS7_7AddReluELNS_25InMemoryDataOperationEnumE0ENS_16TensorDescriptorINS5_IJNS_5EmbedINS5_IJiiiEEESD_Lb0EEENS_11PassThroughIiEENS_3PadIiiiLb0EEESG_SG_NSC_INS5_IJiiEEESJ_Lb0EEESG_NS_23Merge_v2_magic_divisionISJ_EESM_NS_8RightPadIiiLb0EEESO_NS_7UnMergeISJ_Lb0EEESG_EEENS5_IJNS_8SequenceIJLi0EEEENSS_IJLi1EEEENSS_IJLi2EEEENSS_IJLi3EEEENSS_IJLi4EEEENSS_IJLi5EEEENSS_IJLi6EEEENSS_IJLi7ELi9EEEENSS_IJLi8ELi10EEEENSS_IJLi11EEEENSS_IJLi12EEEENSS_IJLi14EEEENSS_IJLi13EEEEEEENS5_IJNSS_IJLi1ELi2ELi3EEEESX_SY_SZ_NSS_IJLi7EEEENSS_IJLi8ELi9EEEENSS_IJLi10EEEES12_S13_S15_S14_NSS_IJLi15ELi16EEEENSS_IJLi17EEEEEEENSS_IJLi15ELi17ELi16EEEElEENSB_INS5_IJSQ_SO_SO_SQ_SG_EEENS5_IJST_SU_SV_SX_SW_EEENS5_IJNSS_IJLi1ELi2EEEESW_SX_NSS_IJLi5ELi6EEEES18_EEENSS_IJLi5ELi7ELi6EEEElEENSB_INS5_IJSK_SO_SO_EEENS5_IJST_SU_SV_EEENS5_IJS1I_SW_SX_EEENSS_IJLi3ELi4EEEElEELi128ELi128ELi16ELi2ELi4ELi4ELi1ENSS_IJLi8ELi2EEEES1S_NSS_IJLi8ELi1ELi1ELi2EEEENSS_IJLi2ELi1ELi128ELi1EEEENSS_IJLi1ELi2ELi0ELi3EEEES1V_NSS_IJLi4ELi1ELi1ELi2EEEES1V_NSS_IJLi1ELi1ELi1ELi2EEEES1T_S1U_S1V_S1V_S1W_S1V_S1X_NSS_IJLi0ELi1ELi2ELi3ELi4ELi5EEEELi5ELi4EEEDF16_NS5_IJPKDF16_EEEDF16_S8_S8_S9_NSB_INS5_IJSE_SG_SI_SG_SG_SK_SG_SM_SM_SO_SO_SQ_SG_SG_NSP_INS5_IJiNS_17integral_constantIiLi128EEEEEELb0EEENSF_INS23_IiLi2EEEEEEEENS5_IJST_SU_SV_SW_SX_SY_SZ_S10_S11_S12_S13_S14_S15_NSS_IJLi15EEEES1C_NSS_IJLi16EEEEEEENS5_IJS17_SX_SY_SZ_S18_S19_S1A_S12_S13_S15_S14_S1B_S1C_NSS_IJLi18EEEENSS_IJLi19ELi20EEEENSS_IJLi21EEEEEEENSS_IJLi18ELi19ELi20ELi21EEEElEENSB_INS5_IJSQ_SO_SO_SQ_SG_SG_S26_S28_EEENS5_IJST_SU_SV_SX_SW_SY_S18_SZ_EEENS5_IJS1I_SW_SX_S1J_S18_NSS_IJLi8EEEENSS_IJLi9ELi10EEEES12_EEENSS_IJLi8ELi9ELi10ELi11EEEElEENS5_IJNSB_INS5_IJSK_SO_SO_NSP_INS5_IJiS27_NS23_IiLi64EEEEEELb0EEES2S_EEENS5_IJST_SU_SV_SW_SX_EEENS5_IJS1I_SW_SX_NSS_IJLi5ELi6ELi7EEEENSS_IJLi8ELi9ELi10EEEEEEENSS_IJLi5ELi6ELi7ELi8ELi9ELi10EEEElEEEEES2Z_NS_31BlockToCTileMap_M00_N00_M01_N01ILi128ELi128ES1R_Lb0EEENS1_30ComputePtrOffsetOfStridedBatchILi1ELi1ELi1EvEELb1ELb0EEEvPKT0_S37_T1_PT2_T3_T4_T5_iT6_T7_T8_T9_T10_T11_,"axG",@progbits,_ZN2ck16tensor_operation6device12_GLOBAL__N_137kernel_grouped_conv_fwd_dl_multiple_dINS_32GridwiseGemmDlMultipleD_km_kn_mnILi256EDF16_fNS_5TupleIJDF16_EEEDF16_NS0_12element_wise11PassThroughES8_NS7_7AddReluELNS_25InMemoryDataOperationEnumE0ENS_16TensorDescriptorINS5_IJNS_5EmbedINS5_IJiiiEEESD_Lb0EEENS_11PassThroughIiEENS_3PadIiiiLb0EEESG_SG_NSC_INS5_IJiiEEESJ_Lb0EEESG_NS_23Merge_v2_magic_divisionISJ_EESM_NS_8RightPadIiiLb0EEESO_NS_7UnMergeISJ_Lb0EEESG_EEENS5_IJNS_8SequenceIJLi0EEEENSS_IJLi1EEEENSS_IJLi2EEEENSS_IJLi3EEEENSS_IJLi4EEEENSS_IJLi5EEEENSS_IJLi6EEEENSS_IJLi7ELi9EEEENSS_IJLi8ELi10EEEENSS_IJLi11EEEENSS_IJLi12EEEENSS_IJLi14EEEENSS_IJLi13EEEEEEENS5_IJNSS_IJLi1ELi2ELi3EEEESX_SY_SZ_NSS_IJLi7EEEENSS_IJLi8ELi9EEEENSS_IJLi10EEEES12_S13_S15_S14_NSS_IJLi15ELi16EEEENSS_IJLi17EEEEEEENSS_IJLi15ELi17ELi16EEEElEENSB_INS5_IJSQ_SO_SO_SQ_SG_EEENS5_IJST_SU_SV_SX_SW_EEENS5_IJNSS_IJLi1ELi2EEEESW_SX_NSS_IJLi5ELi6EEEES18_EEENSS_IJLi5ELi7ELi6EEEElEENSB_INS5_IJSK_SO_SO_EEENS5_IJST_SU_SV_EEENS5_IJS1I_SW_SX_EEENSS_IJLi3ELi4EEEElEELi128ELi128ELi16ELi2ELi4ELi4ELi1ENSS_IJLi8ELi2EEEES1S_NSS_IJLi8ELi1ELi1ELi2EEEENSS_IJLi2ELi1ELi128ELi1EEEENSS_IJLi1ELi2ELi0ELi3EEEES1V_NSS_IJLi4ELi1ELi1ELi2EEEES1V_NSS_IJLi1ELi1ELi1ELi2EEEES1T_S1U_S1V_S1V_S1W_S1V_S1X_NSS_IJLi0ELi1ELi2ELi3ELi4ELi5EEEELi5ELi4EEEDF16_NS5_IJPKDF16_EEEDF16_S8_S8_S9_NSB_INS5_IJSE_SG_SI_SG_SG_SK_SG_SM_SM_SO_SO_SQ_SG_SG_NSP_INS5_IJiNS_17integral_constantIiLi128EEEEEELb0EEENSF_INS23_IiLi2EEEEEEEENS5_IJST_SU_SV_SW_SX_SY_SZ_S10_S11_S12_S13_S14_S15_NSS_IJLi15EEEES1C_NSS_IJLi16EEEEEEENS5_IJS17_SX_SY_SZ_S18_S19_S1A_S12_S13_S15_S14_S1B_S1C_NSS_IJLi18EEEENSS_IJLi19ELi20EEEENSS_IJLi21EEEEEEENSS_IJLi18ELi19ELi20ELi21EEEElEENSB_INS5_IJSQ_SO_SO_SQ_SG_SG_S26_S28_EEENS5_IJST_SU_SV_SX_SW_SY_S18_SZ_EEENS5_IJS1I_SW_SX_S1J_S18_NSS_IJLi8EEEENSS_IJLi9ELi10EEEES12_EEENSS_IJLi8ELi9ELi10ELi11EEEElEENS5_IJNSB_INS5_IJSK_SO_SO_NSP_INS5_IJiS27_NS23_IiLi64EEEEEELb0EEES2S_EEENS5_IJST_SU_SV_SW_SX_EEENS5_IJS1I_SW_SX_NSS_IJLi5ELi6ELi7EEEENSS_IJLi8ELi9ELi10EEEEEEENSS_IJLi5ELi6ELi7ELi8ELi9ELi10EEEElEEEEES2Z_NS_31BlockToCTileMap_M00_N00_M01_N01ILi128ELi128ES1R_Lb0EEENS1_30ComputePtrOffsetOfStridedBatchILi1ELi1ELi1EvEELb1ELb0EEEvPKT0_S37_T1_PT2_T3_T4_T5_iT6_T7_T8_T9_T10_T11_,comdat
	.globl	_ZN2ck16tensor_operation6device12_GLOBAL__N_137kernel_grouped_conv_fwd_dl_multiple_dINS_32GridwiseGemmDlMultipleD_km_kn_mnILi256EDF16_fNS_5TupleIJDF16_EEEDF16_NS0_12element_wise11PassThroughES8_NS7_7AddReluELNS_25InMemoryDataOperationEnumE0ENS_16TensorDescriptorINS5_IJNS_5EmbedINS5_IJiiiEEESD_Lb0EEENS_11PassThroughIiEENS_3PadIiiiLb0EEESG_SG_NSC_INS5_IJiiEEESJ_Lb0EEESG_NS_23Merge_v2_magic_divisionISJ_EESM_NS_8RightPadIiiLb0EEESO_NS_7UnMergeISJ_Lb0EEESG_EEENS5_IJNS_8SequenceIJLi0EEEENSS_IJLi1EEEENSS_IJLi2EEEENSS_IJLi3EEEENSS_IJLi4EEEENSS_IJLi5EEEENSS_IJLi6EEEENSS_IJLi7ELi9EEEENSS_IJLi8ELi10EEEENSS_IJLi11EEEENSS_IJLi12EEEENSS_IJLi14EEEENSS_IJLi13EEEEEEENS5_IJNSS_IJLi1ELi2ELi3EEEESX_SY_SZ_NSS_IJLi7EEEENSS_IJLi8ELi9EEEENSS_IJLi10EEEES12_S13_S15_S14_NSS_IJLi15ELi16EEEENSS_IJLi17EEEEEEENSS_IJLi15ELi17ELi16EEEElEENSB_INS5_IJSQ_SO_SO_SQ_SG_EEENS5_IJST_SU_SV_SX_SW_EEENS5_IJNSS_IJLi1ELi2EEEESW_SX_NSS_IJLi5ELi6EEEES18_EEENSS_IJLi5ELi7ELi6EEEElEENSB_INS5_IJSK_SO_SO_EEENS5_IJST_SU_SV_EEENS5_IJS1I_SW_SX_EEENSS_IJLi3ELi4EEEElEELi128ELi128ELi16ELi2ELi4ELi4ELi1ENSS_IJLi8ELi2EEEES1S_NSS_IJLi8ELi1ELi1ELi2EEEENSS_IJLi2ELi1ELi128ELi1EEEENSS_IJLi1ELi2ELi0ELi3EEEES1V_NSS_IJLi4ELi1ELi1ELi2EEEES1V_NSS_IJLi1ELi1ELi1ELi2EEEES1T_S1U_S1V_S1V_S1W_S1V_S1X_NSS_IJLi0ELi1ELi2ELi3ELi4ELi5EEEELi5ELi4EEEDF16_NS5_IJPKDF16_EEEDF16_S8_S8_S9_NSB_INS5_IJSE_SG_SI_SG_SG_SK_SG_SM_SM_SO_SO_SQ_SG_SG_NSP_INS5_IJiNS_17integral_constantIiLi128EEEEEELb0EEENSF_INS23_IiLi2EEEEEEEENS5_IJST_SU_SV_SW_SX_SY_SZ_S10_S11_S12_S13_S14_S15_NSS_IJLi15EEEES1C_NSS_IJLi16EEEEEEENS5_IJS17_SX_SY_SZ_S18_S19_S1A_S12_S13_S15_S14_S1B_S1C_NSS_IJLi18EEEENSS_IJLi19ELi20EEEENSS_IJLi21EEEEEEENSS_IJLi18ELi19ELi20ELi21EEEElEENSB_INS5_IJSQ_SO_SO_SQ_SG_SG_S26_S28_EEENS5_IJST_SU_SV_SX_SW_SY_S18_SZ_EEENS5_IJS1I_SW_SX_S1J_S18_NSS_IJLi8EEEENSS_IJLi9ELi10EEEES12_EEENSS_IJLi8ELi9ELi10ELi11EEEElEENS5_IJNSB_INS5_IJSK_SO_SO_NSP_INS5_IJiS27_NS23_IiLi64EEEEEELb0EEES2S_EEENS5_IJST_SU_SV_SW_SX_EEENS5_IJS1I_SW_SX_NSS_IJLi5ELi6ELi7EEEENSS_IJLi8ELi9ELi10EEEEEEENSS_IJLi5ELi6ELi7ELi8ELi9ELi10EEEElEEEEES2Z_NS_31BlockToCTileMap_M00_N00_M01_N01ILi128ELi128ES1R_Lb0EEENS1_30ComputePtrOffsetOfStridedBatchILi1ELi1ELi1EvEELb1ELb0EEEvPKT0_S37_T1_PT2_T3_T4_T5_iT6_T7_T8_T9_T10_T11_ ; -- Begin function _ZN2ck16tensor_operation6device12_GLOBAL__N_137kernel_grouped_conv_fwd_dl_multiple_dINS_32GridwiseGemmDlMultipleD_km_kn_mnILi256EDF16_fNS_5TupleIJDF16_EEEDF16_NS0_12element_wise11PassThroughES8_NS7_7AddReluELNS_25InMemoryDataOperationEnumE0ENS_16TensorDescriptorINS5_IJNS_5EmbedINS5_IJiiiEEESD_Lb0EEENS_11PassThroughIiEENS_3PadIiiiLb0EEESG_SG_NSC_INS5_IJiiEEESJ_Lb0EEESG_NS_23Merge_v2_magic_divisionISJ_EESM_NS_8RightPadIiiLb0EEESO_NS_7UnMergeISJ_Lb0EEESG_EEENS5_IJNS_8SequenceIJLi0EEEENSS_IJLi1EEEENSS_IJLi2EEEENSS_IJLi3EEEENSS_IJLi4EEEENSS_IJLi5EEEENSS_IJLi6EEEENSS_IJLi7ELi9EEEENSS_IJLi8ELi10EEEENSS_IJLi11EEEENSS_IJLi12EEEENSS_IJLi14EEEENSS_IJLi13EEEEEEENS5_IJNSS_IJLi1ELi2ELi3EEEESX_SY_SZ_NSS_IJLi7EEEENSS_IJLi8ELi9EEEENSS_IJLi10EEEES12_S13_S15_S14_NSS_IJLi15ELi16EEEENSS_IJLi17EEEEEEENSS_IJLi15ELi17ELi16EEEElEENSB_INS5_IJSQ_SO_SO_SQ_SG_EEENS5_IJST_SU_SV_SX_SW_EEENS5_IJNSS_IJLi1ELi2EEEESW_SX_NSS_IJLi5ELi6EEEES18_EEENSS_IJLi5ELi7ELi6EEEElEENSB_INS5_IJSK_SO_SO_EEENS5_IJST_SU_SV_EEENS5_IJS1I_SW_SX_EEENSS_IJLi3ELi4EEEElEELi128ELi128ELi16ELi2ELi4ELi4ELi1ENSS_IJLi8ELi2EEEES1S_NSS_IJLi8ELi1ELi1ELi2EEEENSS_IJLi2ELi1ELi128ELi1EEEENSS_IJLi1ELi2ELi0ELi3EEEES1V_NSS_IJLi4ELi1ELi1ELi2EEEES1V_NSS_IJLi1ELi1ELi1ELi2EEEES1T_S1U_S1V_S1V_S1W_S1V_S1X_NSS_IJLi0ELi1ELi2ELi3ELi4ELi5EEEELi5ELi4EEEDF16_NS5_IJPKDF16_EEEDF16_S8_S8_S9_NSB_INS5_IJSE_SG_SI_SG_SG_SK_SG_SM_SM_SO_SO_SQ_SG_SG_NSP_INS5_IJiNS_17integral_constantIiLi128EEEEEELb0EEENSF_INS23_IiLi2EEEEEEEENS5_IJST_SU_SV_SW_SX_SY_SZ_S10_S11_S12_S13_S14_S15_NSS_IJLi15EEEES1C_NSS_IJLi16EEEEEEENS5_IJS17_SX_SY_SZ_S18_S19_S1A_S12_S13_S15_S14_S1B_S1C_NSS_IJLi18EEEENSS_IJLi19ELi20EEEENSS_IJLi21EEEEEEENSS_IJLi18ELi19ELi20ELi21EEEElEENSB_INS5_IJSQ_SO_SO_SQ_SG_SG_S26_S28_EEENS5_IJST_SU_SV_SX_SW_SY_S18_SZ_EEENS5_IJS1I_SW_SX_S1J_S18_NSS_IJLi8EEEENSS_IJLi9ELi10EEEES12_EEENSS_IJLi8ELi9ELi10ELi11EEEElEENS5_IJNSB_INS5_IJSK_SO_SO_NSP_INS5_IJiS27_NS23_IiLi64EEEEEELb0EEES2S_EEENS5_IJST_SU_SV_SW_SX_EEENS5_IJS1I_SW_SX_NSS_IJLi5ELi6ELi7EEEENSS_IJLi8ELi9ELi10EEEEEEENSS_IJLi5ELi6ELi7ELi8ELi9ELi10EEEElEEEEES2Z_NS_31BlockToCTileMap_M00_N00_M01_N01ILi128ELi128ES1R_Lb0EEENS1_30ComputePtrOffsetOfStridedBatchILi1ELi1ELi1EvEELb1ELb0EEEvPKT0_S37_T1_PT2_T3_T4_T5_iT6_T7_T8_T9_T10_T11_
	.p2align	8
	.type	_ZN2ck16tensor_operation6device12_GLOBAL__N_137kernel_grouped_conv_fwd_dl_multiple_dINS_32GridwiseGemmDlMultipleD_km_kn_mnILi256EDF16_fNS_5TupleIJDF16_EEEDF16_NS0_12element_wise11PassThroughES8_NS7_7AddReluELNS_25InMemoryDataOperationEnumE0ENS_16TensorDescriptorINS5_IJNS_5EmbedINS5_IJiiiEEESD_Lb0EEENS_11PassThroughIiEENS_3PadIiiiLb0EEESG_SG_NSC_INS5_IJiiEEESJ_Lb0EEESG_NS_23Merge_v2_magic_divisionISJ_EESM_NS_8RightPadIiiLb0EEESO_NS_7UnMergeISJ_Lb0EEESG_EEENS5_IJNS_8SequenceIJLi0EEEENSS_IJLi1EEEENSS_IJLi2EEEENSS_IJLi3EEEENSS_IJLi4EEEENSS_IJLi5EEEENSS_IJLi6EEEENSS_IJLi7ELi9EEEENSS_IJLi8ELi10EEEENSS_IJLi11EEEENSS_IJLi12EEEENSS_IJLi14EEEENSS_IJLi13EEEEEEENS5_IJNSS_IJLi1ELi2ELi3EEEESX_SY_SZ_NSS_IJLi7EEEENSS_IJLi8ELi9EEEENSS_IJLi10EEEES12_S13_S15_S14_NSS_IJLi15ELi16EEEENSS_IJLi17EEEEEEENSS_IJLi15ELi17ELi16EEEElEENSB_INS5_IJSQ_SO_SO_SQ_SG_EEENS5_IJST_SU_SV_SX_SW_EEENS5_IJNSS_IJLi1ELi2EEEESW_SX_NSS_IJLi5ELi6EEEES18_EEENSS_IJLi5ELi7ELi6EEEElEENSB_INS5_IJSK_SO_SO_EEENS5_IJST_SU_SV_EEENS5_IJS1I_SW_SX_EEENSS_IJLi3ELi4EEEElEELi128ELi128ELi16ELi2ELi4ELi4ELi1ENSS_IJLi8ELi2EEEES1S_NSS_IJLi8ELi1ELi1ELi2EEEENSS_IJLi2ELi1ELi128ELi1EEEENSS_IJLi1ELi2ELi0ELi3EEEES1V_NSS_IJLi4ELi1ELi1ELi2EEEES1V_NSS_IJLi1ELi1ELi1ELi2EEEES1T_S1U_S1V_S1V_S1W_S1V_S1X_NSS_IJLi0ELi1ELi2ELi3ELi4ELi5EEEELi5ELi4EEEDF16_NS5_IJPKDF16_EEEDF16_S8_S8_S9_NSB_INS5_IJSE_SG_SI_SG_SG_SK_SG_SM_SM_SO_SO_SQ_SG_SG_NSP_INS5_IJiNS_17integral_constantIiLi128EEEEEELb0EEENSF_INS23_IiLi2EEEEEEEENS5_IJST_SU_SV_SW_SX_SY_SZ_S10_S11_S12_S13_S14_S15_NSS_IJLi15EEEES1C_NSS_IJLi16EEEEEEENS5_IJS17_SX_SY_SZ_S18_S19_S1A_S12_S13_S15_S14_S1B_S1C_NSS_IJLi18EEEENSS_IJLi19ELi20EEEENSS_IJLi21EEEEEEENSS_IJLi18ELi19ELi20ELi21EEEElEENSB_INS5_IJSQ_SO_SO_SQ_SG_SG_S26_S28_EEENS5_IJST_SU_SV_SX_SW_SY_S18_SZ_EEENS5_IJS1I_SW_SX_S1J_S18_NSS_IJLi8EEEENSS_IJLi9ELi10EEEES12_EEENSS_IJLi8ELi9ELi10ELi11EEEElEENS5_IJNSB_INS5_IJSK_SO_SO_NSP_INS5_IJiS27_NS23_IiLi64EEEEEELb0EEES2S_EEENS5_IJST_SU_SV_SW_SX_EEENS5_IJS1I_SW_SX_NSS_IJLi5ELi6ELi7EEEENSS_IJLi8ELi9ELi10EEEEEEENSS_IJLi5ELi6ELi7ELi8ELi9ELi10EEEElEEEEES2Z_NS_31BlockToCTileMap_M00_N00_M01_N01ILi128ELi128ES1R_Lb0EEENS1_30ComputePtrOffsetOfStridedBatchILi1ELi1ELi1EvEELb1ELb0EEEvPKT0_S37_T1_PT2_T3_T4_T5_iT6_T7_T8_T9_T10_T11_,@function
_ZN2ck16tensor_operation6device12_GLOBAL__N_137kernel_grouped_conv_fwd_dl_multiple_dINS_32GridwiseGemmDlMultipleD_km_kn_mnILi256EDF16_fNS_5TupleIJDF16_EEEDF16_NS0_12element_wise11PassThroughES8_NS7_7AddReluELNS_25InMemoryDataOperationEnumE0ENS_16TensorDescriptorINS5_IJNS_5EmbedINS5_IJiiiEEESD_Lb0EEENS_11PassThroughIiEENS_3PadIiiiLb0EEESG_SG_NSC_INS5_IJiiEEESJ_Lb0EEESG_NS_23Merge_v2_magic_divisionISJ_EESM_NS_8RightPadIiiLb0EEESO_NS_7UnMergeISJ_Lb0EEESG_EEENS5_IJNS_8SequenceIJLi0EEEENSS_IJLi1EEEENSS_IJLi2EEEENSS_IJLi3EEEENSS_IJLi4EEEENSS_IJLi5EEEENSS_IJLi6EEEENSS_IJLi7ELi9EEEENSS_IJLi8ELi10EEEENSS_IJLi11EEEENSS_IJLi12EEEENSS_IJLi14EEEENSS_IJLi13EEEEEEENS5_IJNSS_IJLi1ELi2ELi3EEEESX_SY_SZ_NSS_IJLi7EEEENSS_IJLi8ELi9EEEENSS_IJLi10EEEES12_S13_S15_S14_NSS_IJLi15ELi16EEEENSS_IJLi17EEEEEEENSS_IJLi15ELi17ELi16EEEElEENSB_INS5_IJSQ_SO_SO_SQ_SG_EEENS5_IJST_SU_SV_SX_SW_EEENS5_IJNSS_IJLi1ELi2EEEESW_SX_NSS_IJLi5ELi6EEEES18_EEENSS_IJLi5ELi7ELi6EEEElEENSB_INS5_IJSK_SO_SO_EEENS5_IJST_SU_SV_EEENS5_IJS1I_SW_SX_EEENSS_IJLi3ELi4EEEElEELi128ELi128ELi16ELi2ELi4ELi4ELi1ENSS_IJLi8ELi2EEEES1S_NSS_IJLi8ELi1ELi1ELi2EEEENSS_IJLi2ELi1ELi128ELi1EEEENSS_IJLi1ELi2ELi0ELi3EEEES1V_NSS_IJLi4ELi1ELi1ELi2EEEES1V_NSS_IJLi1ELi1ELi1ELi2EEEES1T_S1U_S1V_S1V_S1W_S1V_S1X_NSS_IJLi0ELi1ELi2ELi3ELi4ELi5EEEELi5ELi4EEEDF16_NS5_IJPKDF16_EEEDF16_S8_S8_S9_NSB_INS5_IJSE_SG_SI_SG_SG_SK_SG_SM_SM_SO_SO_SQ_SG_SG_NSP_INS5_IJiNS_17integral_constantIiLi128EEEEEELb0EEENSF_INS23_IiLi2EEEEEEEENS5_IJST_SU_SV_SW_SX_SY_SZ_S10_S11_S12_S13_S14_S15_NSS_IJLi15EEEES1C_NSS_IJLi16EEEEEEENS5_IJS17_SX_SY_SZ_S18_S19_S1A_S12_S13_S15_S14_S1B_S1C_NSS_IJLi18EEEENSS_IJLi19ELi20EEEENSS_IJLi21EEEEEEENSS_IJLi18ELi19ELi20ELi21EEEElEENSB_INS5_IJSQ_SO_SO_SQ_SG_SG_S26_S28_EEENS5_IJST_SU_SV_SX_SW_SY_S18_SZ_EEENS5_IJS1I_SW_SX_S1J_S18_NSS_IJLi8EEEENSS_IJLi9ELi10EEEES12_EEENSS_IJLi8ELi9ELi10ELi11EEEElEENS5_IJNSB_INS5_IJSK_SO_SO_NSP_INS5_IJiS27_NS23_IiLi64EEEEEELb0EEES2S_EEENS5_IJST_SU_SV_SW_SX_EEENS5_IJS1I_SW_SX_NSS_IJLi5ELi6ELi7EEEENSS_IJLi8ELi9ELi10EEEEEEENSS_IJLi5ELi6ELi7ELi8ELi9ELi10EEEElEEEEES2Z_NS_31BlockToCTileMap_M00_N00_M01_N01ILi128ELi128ES1R_Lb0EEENS1_30ComputePtrOffsetOfStridedBatchILi1ELi1ELi1EvEELb1ELb0EEEvPKT0_S37_T1_PT2_T3_T4_T5_iT6_T7_T8_T9_T10_T11_: ; @_ZN2ck16tensor_operation6device12_GLOBAL__N_137kernel_grouped_conv_fwd_dl_multiple_dINS_32GridwiseGemmDlMultipleD_km_kn_mnILi256EDF16_fNS_5TupleIJDF16_EEEDF16_NS0_12element_wise11PassThroughES8_NS7_7AddReluELNS_25InMemoryDataOperationEnumE0ENS_16TensorDescriptorINS5_IJNS_5EmbedINS5_IJiiiEEESD_Lb0EEENS_11PassThroughIiEENS_3PadIiiiLb0EEESG_SG_NSC_INS5_IJiiEEESJ_Lb0EEESG_NS_23Merge_v2_magic_divisionISJ_EESM_NS_8RightPadIiiLb0EEESO_NS_7UnMergeISJ_Lb0EEESG_EEENS5_IJNS_8SequenceIJLi0EEEENSS_IJLi1EEEENSS_IJLi2EEEENSS_IJLi3EEEENSS_IJLi4EEEENSS_IJLi5EEEENSS_IJLi6EEEENSS_IJLi7ELi9EEEENSS_IJLi8ELi10EEEENSS_IJLi11EEEENSS_IJLi12EEEENSS_IJLi14EEEENSS_IJLi13EEEEEEENS5_IJNSS_IJLi1ELi2ELi3EEEESX_SY_SZ_NSS_IJLi7EEEENSS_IJLi8ELi9EEEENSS_IJLi10EEEES12_S13_S15_S14_NSS_IJLi15ELi16EEEENSS_IJLi17EEEEEEENSS_IJLi15ELi17ELi16EEEElEENSB_INS5_IJSQ_SO_SO_SQ_SG_EEENS5_IJST_SU_SV_SX_SW_EEENS5_IJNSS_IJLi1ELi2EEEESW_SX_NSS_IJLi5ELi6EEEES18_EEENSS_IJLi5ELi7ELi6EEEElEENSB_INS5_IJSK_SO_SO_EEENS5_IJST_SU_SV_EEENS5_IJS1I_SW_SX_EEENSS_IJLi3ELi4EEEElEELi128ELi128ELi16ELi2ELi4ELi4ELi1ENSS_IJLi8ELi2EEEES1S_NSS_IJLi8ELi1ELi1ELi2EEEENSS_IJLi2ELi1ELi128ELi1EEEENSS_IJLi1ELi2ELi0ELi3EEEES1V_NSS_IJLi4ELi1ELi1ELi2EEEES1V_NSS_IJLi1ELi1ELi1ELi2EEEES1T_S1U_S1V_S1V_S1W_S1V_S1X_NSS_IJLi0ELi1ELi2ELi3ELi4ELi5EEEELi5ELi4EEEDF16_NS5_IJPKDF16_EEEDF16_S8_S8_S9_NSB_INS5_IJSE_SG_SI_SG_SG_SK_SG_SM_SM_SO_SO_SQ_SG_SG_NSP_INS5_IJiNS_17integral_constantIiLi128EEEEEELb0EEENSF_INS23_IiLi2EEEEEEEENS5_IJST_SU_SV_SW_SX_SY_SZ_S10_S11_S12_S13_S14_S15_NSS_IJLi15EEEES1C_NSS_IJLi16EEEEEEENS5_IJS17_SX_SY_SZ_S18_S19_S1A_S12_S13_S15_S14_S1B_S1C_NSS_IJLi18EEEENSS_IJLi19ELi20EEEENSS_IJLi21EEEEEEENSS_IJLi18ELi19ELi20ELi21EEEElEENSB_INS5_IJSQ_SO_SO_SQ_SG_SG_S26_S28_EEENS5_IJST_SU_SV_SX_SW_SY_S18_SZ_EEENS5_IJS1I_SW_SX_S1J_S18_NSS_IJLi8EEEENSS_IJLi9ELi10EEEES12_EEENSS_IJLi8ELi9ELi10ELi11EEEElEENS5_IJNSB_INS5_IJSK_SO_SO_NSP_INS5_IJiS27_NS23_IiLi64EEEEEELb0EEES2S_EEENS5_IJST_SU_SV_SW_SX_EEENS5_IJS1I_SW_SX_NSS_IJLi5ELi6ELi7EEEENSS_IJLi8ELi9ELi10EEEEEEENSS_IJLi5ELi6ELi7ELi8ELi9ELi10EEEElEEEEES2Z_NS_31BlockToCTileMap_M00_N00_M01_N01ILi128ELi128ES1R_Lb0EEENS1_30ComputePtrOffsetOfStridedBatchILi1ELi1ELi1EvEELb1ELb0EEEvPKT0_S37_T1_PT2_T3_T4_T5_iT6_T7_T8_T9_T10_T11_
; %bb.0:
	s_clause 0x3
	s_load_dword s0, s[4:5], 0x24
	s_load_dword s2, s[4:5], 0x288
	s_load_dwordx4 s[20:23], s[4:5], 0x234
	s_load_dword s52, s[4:5], 0x48
	v_lshrrev_b32_e32 v5, 1, v0
	v_mov_b32_e32 v46, 0
	v_mov_b32_e32 v26, 0
	;; [unrolled: 1-line block ×15, first 2 shown]
	s_waitcnt lgkmcnt(0)
	s_abs_i32 s1, s0
	s_abs_i32 s8, s2
	v_cvt_f32_u32_e32 v1, s1
	s_sub_i32 s7, 0, s1
	s_xor_b32 s0, s2, s0
	v_mov_b32_e32 v57, 0
	s_ashr_i32 s0, s0, 31
	v_rcp_iflag_f32_e32 v1, v1
	v_mov_b32_e32 v58, 0
	v_mov_b32_e32 v18, 0
	;; [unrolled: 1-line block ×9, first 2 shown]
	v_mul_f32_e32 v1, 0x4f7ffffe, v1
	v_mov_b32_e32 v35, 0
	v_mov_b32_e32 v34, 0
	;; [unrolled: 1-line block ×4, first 2 shown]
	v_cvt_u32_f32_e32 v1, v1
	v_mov_b32_e32 v32, 0
	v_mov_b32_e32 v33, 0
	;; [unrolled: 1-line block ×4, first 2 shown]
	v_readfirstlane_b32 s3, v1
	v_mov_b32_e32 v37, 0
	v_mov_b32_e32 v36, 0
	v_mov_b32_e32 v68, 0
	v_mov_b32_e32 v69, 0
	s_mul_i32 s7, s7, s3
	v_mov_b32_e32 v38, 0
	s_mul_hi_u32 s7, s3, s7
	v_mov_b32_e32 v39, 0
	s_add_i32 s3, s3, s7
	v_mov_b32_e32 v70, 0
	s_mul_hi_u32 s3, s8, s3
	v_mov_b32_e32 v71, 0
	s_mul_i32 s2, s3, s1
	s_add_i32 s7, s3, 1
	s_sub_i32 s2, s8, s2
	v_mov_b32_e32 v43, 0
	s_sub_i32 s8, s2, s1
	s_cmp_ge_u32 s2, s1
	v_mov_b32_e32 v42, 0
	s_cselect_b32 s3, s7, s3
	s_cselect_b32 s2, s8, s2
	s_add_i32 s7, s3, 1
	s_cmp_ge_u32 s2, s1
	s_load_dwordx8 s[8:15], s[4:5], 0x260
	s_cselect_b32 s1, s7, s3
	s_abs_i32 s7, s6
	s_xor_b32 s1, s1, s0
	v_mov_b32_e32 v72, 0
	s_sub_i32 s0, s1, s0
	v_mov_b32_e32 v73, 0
	s_abs_i32 s1, s0
	s_xor_b32 s0, s6, s0
	v_cvt_f32_u32_e32 v1, s1
	s_sub_i32 s3, 0, s1
	s_ashr_i32 s16, s0, 31
	v_mov_b32_e32 v40, 0
	v_mov_b32_e32 v41, 0
	v_rcp_iflag_f32_e32 v1, v1
	v_mov_b32_e32 v74, 0
	v_mov_b32_e32 v75, 0
	;; [unrolled: 1-line block ×9, first 2 shown]
	v_mul_f32_e32 v1, 0x4f7ffffe, v1
	v_mov_b32_e32 v79, 0
	v_mov_b32_e32 v59, 0
	;; [unrolled: 1-line block ×4, first 2 shown]
	v_cvt_u32_f32_e32 v1, v1
	v_mov_b32_e32 v55, 0
	v_mov_b32_e32 v53, 0
	v_mov_b32_e32 v28, 0
	v_mov_b32_e32 v29, 0
	v_readfirstlane_b32 s2, v1
	v_lshlrev_b32_e32 v1, 3, v0
	s_mov_b32 s53, 0
	s_mov_b32 s54, 0
	s_mul_i32 s3, s3, s2
	v_and_b32_e32 v4, 8, v1
	s_mul_hi_u32 s3, s2, s3
	s_add_i32 s2, s2, s3
	s_mul_hi_u32 s2, s7, s2
	s_mul_i32 s3, s2, s1
	s_sub_i32 s0, s7, s3
	s_add_i32 s3, s2, 1
	s_sub_i32 s7, s0, s1
	s_cmp_ge_u32 s0, s1
	s_cselect_b32 s2, s3, s2
	s_cselect_b32 s0, s7, s0
	s_add_i32 s3, s2, 1
	s_cmp_ge_u32 s0, s1
	s_cselect_b32 s7, s3, s2
	s_clause 0x1
	s_load_dwordx4 s[0:3], s[4:5], 0x0
	s_load_dwordx2 s[42:43], s[4:5], 0x18
	s_xor_b32 s7, s7, s16
	s_sub_i32 s46, s7, s16
	s_load_dwordx4 s[16:19], s[4:5], 0x248
	s_ashr_i32 s47, s46, 31
	s_waitcnt lgkmcnt(0)
	s_mul_hi_u32 s7, s8, s46
	s_mul_i32 s27, s11, s46
	s_mul_i32 s11, s8, s47
	;; [unrolled: 1-line block ×3, first 2 shown]
	s_add_i32 s7, s7, s11
	s_mul_i32 s24, s8, s46
	s_mul_hi_u32 s26, s10, s46
	s_mul_i32 s8, s10, s46
	s_mul_i32 s10, s10, s47
	s_add_i32 s25, s7, s9
	s_add_i32 s7, s26, s10
	s_lshl_b64 s[10:11], s[24:25], 1
	s_add_i32 s9, s7, s27
	s_add_u32 s24, s0, s10
	s_addc_u32 s25, s1, s11
	s_lshl_b64 s[0:1], s[8:9], 1
	s_mul_hi_u32 s7, s23, s6
	s_add_u32 s28, s2, s0
	s_addc_u32 s9, s3, s1
	s_add_i32 s0, s6, s7
	s_load_dword s7, s[4:5], 0xc4
	s_lshr_b32 s8, s0, s19
	s_mov_b32 s27, 0x31014000
	s_mul_hi_u32 s0, s8, s22
	s_and_b32 s25, s25, 0xffff
	s_add_i32 s0, s8, s0
	s_lshr_b32 s10, s0, s18
	s_clause 0x2
	s_load_dword s11, s[4:5], 0x204
	s_load_dword s26, s[4:5], 0x214
	s_load_dwordx4 s[0:3], s[4:5], 0x220
	s_mul_hi_u32 s18, s10, s21
	s_clause 0x3
	s_load_dword s19, s[4:5], 0x78
	s_load_dword s48, s[4:5], 0x94
	;; [unrolled: 1-line block ×4, first 2 shown]
	s_add_i32 s18, s10, s18
	s_clause 0x4
	s_load_dword s30, s[4:5], 0xd0
	s_load_dword s34, s[4:5], 0xe8
	;; [unrolled: 1-line block ×5, first 2 shown]
	s_lshr_b32 s31, s18, s17
	s_mul_hi_u32 s17, s31, s20
	s_add_i32 s17, s31, s17
	s_lshr_b32 s16, s17, s16
	s_waitcnt lgkmcnt(0)
	s_mul_i32 s16, s16, s0
	s_mul_i32 s0, s10, s2
	s_sub_i32 s2, s31, s16
	s_sub_i32 s33, s8, s0
	s_mul_i32 s2, s2, s11
	s_load_dword s0, s[4:5], 0x120
	v_mul_lo_u32 v12, s7, v4
	s_add_i32 s33, s33, s2
	s_clause 0x2
	s_load_dword s51, s[4:5], 0x8c
	s_load_dwordx2 s[44:45], s[4:5], 0x60
	s_load_dword s2, s[4:5], 0x70
	v_lshl_or_b32 v107, s33, 7, v5
	s_lshl_b32 s58, s7, 2
	s_mul_i32 s31, s31, s1
	s_mul_i32 s8, s8, s3
	s_sub_i32 s1, s10, s31
	v_mul_hi_u32 v1, v12, s48
	v_mul_hi_u32 v3, v107, s19
	v_add_nc_u32_e32 v2, s58, v12
	s_load_dwordx8 s[16:23], s[4:5], 0x34
	s_waitcnt lgkmcnt(0)
	s_sub_i32 s23, s6, s8
	s_mul_i32 s1, s1, s26
	s_clause 0x3
	s_load_dword s36, s[4:5], 0x148
	s_load_dwordx2 s[38:39], s[4:5], 0x158
	s_load_dword s19, s[4:5], 0x164
	s_load_dword s21, s[4:5], 0x170
	s_add_i32 s23, s23, s1
	v_add_nc_u32_e32 v1, v12, v1
	v_add_nc_u32_e32 v3, v107, v3
	v_lshl_or_b32 v109, s23, 7, v5
	v_mul_lo_u32 v108, s0, v4
	s_lshl_b32 s3, s0, 2
	v_lshrrev_b32_e32 v6, s49, v1
	v_mul_hi_u32 v1, v2, s48
	v_lshrrev_b32_e32 v7, s29, v3
	v_mul_lo_u32 v110, v109, s35
	s_and_b32 s29, s9, 0xffff
	v_mul_lo_u32 v3, v6, s44
	v_mul_lo_u32 v8, v6, s51
	;; [unrolled: 1-line block ×3, first 2 shown]
	s_mov_b32 s11, s27
	v_add_nc_u32_e32 v1, v2, v1
	v_mul_lo_u32 v7, v7, s16
	s_waitcnt lgkmcnt(0)
	s_lshl_b32 s10, s36, 1
	s_mov_b32 s8, s28
	s_mov_b32 s9, s29
	v_lshrrev_b32_e32 v1, s49, v1
	v_sub_nc_u32_e32 v9, v107, v9
	v_sub_nc_u32_e32 v8, v12, v8
	s_lshl_b32 s26, s34, 1
	v_lshlrev_b32_e32 v5, 2, v5
	v_mul_lo_u32 v10, v1, s51
	v_mad_u64_u32 v[88:89], null, v9, s45, v[3:4]
	v_sub_nc_u32_e32 v6, v1, v6
	v_mul_lo_u32 v3, v8, s18
	s_sub_i32 s20, s20, s22
	s_mul_i32 s6, s7, 12
	v_cmp_gt_i32_e64 s2, s50, v108
	v_sub_nc_u32_e32 v89, v2, v10
	v_subrev_nc_u32_e32 v9, s52, v88
	v_mul_lo_u32 v111, v6, s44
	v_add_nc_u32_e32 v6, v110, v108
	s_lshl_b32 s56, s7, 5
	v_sub_nc_u32_e32 v8, v89, v8
	v_mul_lo_u32 v9, v9, s17
	v_add_nc_u32_e32 v108, s3, v108
	v_lshlrev_b32_e32 v10, 1, v6
	v_add_lshl_u32 v6, v6, s3, 1
	v_mul_lo_u32 v11, v111, s17
	v_mul_lo_u32 v8, v8, s18
	v_cmp_gt_i32_e32 vcc_lo, s59, v109
	s_clause 0x1
	buffer_load_dwordx4 v[91:94], v10, s[8:11], 0 offen
	buffer_load_dwordx4 v[95:98], v6, s[8:11], 0 offen
	v_add3_u32 v3, v7, v3, v9
	v_or_b32_e32 v10, 32, v4
	v_or_b32_e32 v9, 20, v4
	v_cmp_le_i32_e64 s9, s52, v88
	s_lshl_b32 s55, s0, 6
	v_add3_u32 v90, v8, v11, v3
	v_lshlrev_b32_e32 v3, 1, v3
	v_or_b32_e32 v11, 36, v4
	s_add_i32 s58, s58, s6
	v_cmp_gt_i32_e64 s6, s50, v108
	v_lshlrev_b32_e32 v6, 1, v90
	s_clause 0x1
	buffer_load_dwordx4 v[99:102], v3, s[24:27], 0 offen
	buffer_load_dwordx4 v[103:106], v6, s[24:27], 0 offen
	s_clause 0x1
	s_load_dwordx2 s[36:37], s[4:5], 0x1e8
	s_load_dword s8, s[4:5], 0xa8
	s_waitcnt lgkmcnt(0)
	s_load_dword s37, s[4:5], 0xb4
	v_lshrrev_b32_e32 v3, 5, v0
	v_lshlrev_b32_e32 v6, 1, v0
	v_lshlrev_b32_e32 v0, 2, v0
	s_clause 0x3
	s_load_dwordx2 s[40:41], s[4:5], 0x198
	s_load_dwordx2 s[34:35], s[4:5], 0x1a8
	s_load_dword s11, s[4:5], 0x1b4
	s_load_dword s16, s[4:5], 0x1c0
	s_waitcnt lgkmcnt(0)
	s_lshl_b32 s41, s0, 5
	v_lshlrev_b32_e32 v7, 6, v3
	v_and_b32_e32 v8, 0x1f8, v6
	v_lshlrev_b32_e32 v3, 3, v3
	s_sub_i32 s22, s30, 32
	s_mov_b32 s30, s10
	s_mov_b32 s45, 0
	v_sub_nc_u32_e32 v7, v8, v7
	v_or_b32_e32 v8, 16, v4
	v_and_or_b32 v83, v6, 4, v3
	v_lshl_or_b32 v3, v4, 9, v5
	v_mul_lo_u32 v4, s0, v11
	v_and_or_b32 v82, v0, 4, v7
	v_mul_lo_u32 v5, s0, v10
	v_mul_lo_u32 v6, s0, v9
	;; [unrolled: 1-line block ×7, first 2 shown]
	v_cmp_gt_i32_e64 s1, s37, v12
	v_add_nc_u32_e32 v0, v88, v111
	v_cmp_gt_i32_e64 s7, s20, v88
	v_cmp_gt_i32_e64 s3, s37, v2
	;; [unrolled: 1-line block ×3, first 2 shown]
	v_lshlrev_b32_e32 v80, 2, v83
	v_cmp_gt_i32_e64 s8, s20, v0
	s_and_b32 s1, s7, s1
	v_cmp_le_i32_e64 s10, s52, v0
	s_and_b32 s7, s1, s9
	s_and_b32 s1, s2, vcc_lo
	s_and_b32 s3, s8, s3
	v_lshlrev_b32_e32 v81, 2, v82
	s_and_b32 s3, s3, s10
	v_lshlrev_b32_e32 v12, 1, v4
	v_lshlrev_b32_e32 v13, 1, v5
	;; [unrolled: 1-line block ×4, first 2 shown]
	v_mov_b32_e32 v84, v11
	v_mov_b32_e32 v85, v10
	;; [unrolled: 1-line block ×4, first 2 shown]
	v_lshlrev_b32_e32 v88, 1, v110
	s_mov_b32 s31, s27
	s_sub_i32 s57, 0, s51
	s_waitcnt vmcnt(3)
	v_cndmask_b32_e64 v92, 0, v92, s1
	v_cndmask_b32_e64 v91, 0, v91, s1
	;; [unrolled: 1-line block ×4, first 2 shown]
	s_and_b32 s1, s6, vcc_lo
	ds_write2st64_b32 v3, v91, v92 offset0:64 offset1:66
	ds_write2st64_b32 v3, v93, v94 offset0:68 offset1:70
	s_waitcnt vmcnt(2)
	v_cndmask_b32_e64 v98, 0, v98, s1
	v_cndmask_b32_e64 v97, 0, v97, s1
	;; [unrolled: 1-line block ×4, first 2 shown]
	s_and_b32 s1, s0, s7
	s_waitcnt vmcnt(1)
	v_cndmask_b32_e64 v91, 0, v102, s1
	v_cndmask_b32_e64 v92, 0, v101, s1
	;; [unrolled: 1-line block ×4, first 2 shown]
	s_and_b32 s1, s0, s3
	s_waitcnt vmcnt(0)
	v_cndmask_b32_e64 v100, 0, v104, s1
	v_cndmask_b32_e64 v101, 0, v103, s1
	;; [unrolled: 1-line block ×4, first 2 shown]
	ds_write2st64_b32 v3, v95, v96 offset0:72 offset1:74
	ds_write2st64_b32 v3, v94, v93 offset1:2
	ds_write2st64_b32 v3, v92, v91 offset0:4 offset1:6
	ds_write2st64_b32 v3, v101, v100 offset0:8 offset1:10
	;; [unrolled: 1-line block ×4, first 2 shown]
.LBB2_1:                                ; =>This Inner Loop Header: Depth=1
	v_mul_hi_u32 v93, s48, v87
	v_add_nc_u32_e32 v94, s45, v8
	v_mul_hi_u32 v100, s48, v86
	v_add_nc_u32_e32 v104, s53, v7
	v_mul_hi_u32 v92, s48, v85
	v_mul_hi_u32 v91, s48, v84
	v_cmp_gt_i32_e64 s1, s37, v94
	v_add3_u32 v2, s58, s58, v2
	v_add_nc_u32_e32 v93, v94, v93
	v_add_nc_u32_e32 v87, s56, v87
	;; [unrolled: 1-line block ×5, first 2 shown]
	v_lshrrev_b32_e32 v101, s49, v93
	s_add_i32 s54, s54, 32
	v_mul_lo_u32 v93, s57, v101
	v_sub_nc_u32_e32 v1, v101, v1
	v_mul_lo_u32 v1, v1, s44
	v_sub_nc_u32_e32 v89, v93, v89
	v_add_nc_u32_e32 v102, v94, v93
	v_add_nc_u32_e32 v89, v94, v89
	;; [unrolled: 1-line block ×3, first 2 shown]
	v_mul_lo_u32 v0, v1, s17
	v_mul_lo_u32 v1, v89, s18
	v_cmp_gt_i32_e64 s3, s20, v103
	v_cmp_le_i32_e64 s2, s52, v103
	s_and_b32 s1, s3, s1
	s_and_b32 s1, s1, s2
	v_add3_u32 v90, v0, v90, v1
	s_and_b32 s1, s0, s1
	v_lshlrev_b32_e32 v0, 1, v90
	buffer_load_dwordx4 v[96:99], v0, s[24:27], 0 offen
	s_waitcnt vmcnt(0)
	v_cndmask_b32_e64 v95, 0, v97, s1
	v_add_nc_u32_e32 v97, s45, v9
	v_cndmask_b32_e64 v93, 0, v99, s1
	v_cndmask_b32_e64 v94, 0, v98, s1
	;; [unrolled: 1-line block ×3, first 2 shown]
	v_add_nc_u32_e32 v0, v97, v100
	v_cmp_gt_i32_e64 s1, s37, v97
	v_lshrrev_b32_e32 v89, s49, v0
	v_mad_u64_u32 v[0:1], null, s57, v89, v[97:98]
	v_sub_nc_u32_e32 v1, v89, v101
	v_mul_lo_u32 v99, v1, s44
	v_sub_nc_u32_e32 v98, v0, v102
	v_mul_lo_u32 v98, v98, s18
	v_add_nc_u32_e32 v1, v99, v103
	v_mul_lo_u32 v99, v99, s17
	v_cmp_gt_i32_e64 s3, s20, v1
	v_cmp_le_i32_e64 s2, s52, v1
	v_add3_u32 v90, v90, v99, v98
	s_and_b32 s1, s3, s1
	s_and_b32 s1, s1, s2
	v_lshlrev_b32_e32 v98, 1, v90
	s_and_b32 s1, s0, s1
	buffer_load_dwordx4 v[100:103], v98, s[24:27], 0 offen
	s_waitcnt vmcnt(0)
	v_cndmask_b32_e64 v99, 0, v101, s1
	v_add_nc_u32_e32 v101, v15, v88
	v_cndmask_b32_e64 v97, 0, v103, s1
	v_cndmask_b32_e64 v98, 0, v102, s1
	;; [unrolled: 1-line block ×3, first 2 shown]
	v_cmp_gt_i32_e64 s1, s50, v104
	buffer_load_dwordx4 v[104:107], v101, s[28:31], 0 offen
	s_and_b32 s1, vcc_lo, s1
	s_waitcnt vmcnt(0)
	v_cndmask_b32_e64 v102, 0, v106, s1
	v_add_nc_u32_e32 v106, v14, v88
	v_cndmask_b32_e64 v103, 0, v105, s1
	v_add_nc_u32_e32 v105, s53, v6
	v_cndmask_b32_e64 v101, 0, v107, s1
	v_cndmask_b32_e64 v104, 0, v104, s1
	buffer_load_dwordx4 v[108:111], v106, s[28:31], 0 offen
	s_waitcnt lgkmcnt(0)
	v_cmp_gt_i32_e64 s1, s50, v105
	s_barrier
	s_and_b32 s1, vcc_lo, s1
	s_waitcnt vmcnt(0)
	v_cndmask_b32_e64 v105, 0, v111, s1
	v_cndmask_b32_e64 v106, 0, v110, s1
	;; [unrolled: 1-line block ×3, first 2 shown]
	ds_read_b128 v[109:112], v80
	ds_read_b128 v[113:116], v81 offset:16384
	ds_read_b128 v[117:120], v81 offset:16640
	ds_read_b128 v[121:124], v80 offset:256
	v_cndmask_b32_e64 v108, 0, v108, s1
	s_waitcnt lgkmcnt(2)
	v_dot2c_f32_f16 v79, v109, v113
	v_dot2c_f32_f16 v78, v109, v114
	;; [unrolled: 1-line block ×16, first 2 shown]
	s_waitcnt lgkmcnt(1)
	v_dot2c_f32_f16 v77, v109, v117
	v_dot2c_f32_f16 v76, v109, v118
	;; [unrolled: 1-line block ×16, first 2 shown]
	ds_read_b128 v[109:112], v80 offset:512
	s_waitcnt lgkmcnt(1)
	v_dot2c_f32_f16 v63, v121, v113
	v_dot2c_f32_f16 v62, v121, v114
	;; [unrolled: 1-line block ×16, first 2 shown]
	ds_read_b128 v[113:116], v81 offset:16896
	v_dot2c_f32_f16 v61, v121, v117
	v_dot2c_f32_f16 v60, v121, v118
	;; [unrolled: 1-line block ×16, first 2 shown]
	ds_read_b128 v[117:120], v81 offset:17152
	ds_read_b128 v[121:124], v80 offset:768
	s_waitcnt lgkmcnt(2)
	v_dot2c_f32_f16 v79, v109, v113
	v_dot2c_f32_f16 v78, v109, v114
	;; [unrolled: 1-line block ×16, first 2 shown]
	s_waitcnt lgkmcnt(1)
	v_dot2c_f32_f16 v77, v109, v117
	v_dot2c_f32_f16 v76, v109, v118
	;; [unrolled: 1-line block ×16, first 2 shown]
	ds_read_b128 v[109:112], v80 offset:1024
	s_waitcnt lgkmcnt(1)
	v_dot2c_f32_f16 v63, v121, v113
	v_dot2c_f32_f16 v62, v121, v114
	;; [unrolled: 1-line block ×16, first 2 shown]
	ds_read_b128 v[113:116], v81 offset:17408
	v_dot2c_f32_f16 v61, v121, v117
	v_dot2c_f32_f16 v60, v121, v118
	v_dot2c_f32_f16 v19, v121, v119
	v_dot2c_f32_f16 v18, v121, v120
	v_dot2c_f32_f16 v56, v122, v117
	v_dot2c_f32_f16 v54, v122, v118
	v_dot2c_f32_f16 v21, v122, v119
	v_dot2c_f32_f16 v20, v122, v120
	v_dot2c_f32_f16 v48, v123, v117
	v_dot2c_f32_f16 v47, v123, v118
	v_dot2c_f32_f16 v27, v123, v119
	v_dot2c_f32_f16 v26, v123, v120
	v_dot2c_f32_f16 v55, v124, v117
	v_dot2c_f32_f16 v53, v124, v118
	v_dot2c_f32_f16 v28, v124, v119
	v_dot2c_f32_f16 v29, v124, v120
	ds_read_b128 v[117:120], v81 offset:17664
	ds_read_b128 v[121:124], v80 offset:1280
	s_waitcnt lgkmcnt(2)
	v_dot2c_f32_f16 v79, v109, v113
	v_dot2c_f32_f16 v78, v109, v114
	;; [unrolled: 1-line block ×16, first 2 shown]
	s_waitcnt lgkmcnt(1)
	v_dot2c_f32_f16 v77, v109, v117
	v_dot2c_f32_f16 v76, v109, v118
	;; [unrolled: 1-line block ×16, first 2 shown]
	ds_read_b128 v[109:112], v80 offset:1536
	s_waitcnt lgkmcnt(1)
	v_dot2c_f32_f16 v63, v121, v113
	v_dot2c_f32_f16 v62, v121, v114
	;; [unrolled: 1-line block ×16, first 2 shown]
	ds_read_b128 v[113:116], v81 offset:17920
	v_dot2c_f32_f16 v61, v121, v117
	v_dot2c_f32_f16 v60, v121, v118
	;; [unrolled: 1-line block ×16, first 2 shown]
	ds_read_b128 v[117:120], v81 offset:18176
	ds_read_b128 v[121:124], v80 offset:1792
	s_waitcnt lgkmcnt(2)
	v_dot2c_f32_f16 v79, v109, v113
	v_dot2c_f32_f16 v78, v109, v114
	;; [unrolled: 1-line block ×16, first 2 shown]
	s_waitcnt lgkmcnt(1)
	v_dot2c_f32_f16 v77, v109, v117
	v_dot2c_f32_f16 v76, v109, v118
	;; [unrolled: 1-line block ×16, first 2 shown]
	ds_read_b128 v[109:112], v80 offset:2048
	s_waitcnt lgkmcnt(1)
	v_dot2c_f32_f16 v63, v121, v113
	v_dot2c_f32_f16 v62, v121, v114
	;; [unrolled: 1-line block ×16, first 2 shown]
	ds_read_b128 v[113:116], v81 offset:18432
	v_dot2c_f32_f16 v61, v121, v117
	v_dot2c_f32_f16 v60, v121, v118
	;; [unrolled: 1-line block ×16, first 2 shown]
	ds_read_b128 v[117:120], v81 offset:18688
	ds_read_b128 v[121:124], v80 offset:2304
	s_waitcnt lgkmcnt(2)
	v_dot2c_f32_f16 v79, v109, v113
	v_dot2c_f32_f16 v78, v109, v114
	;; [unrolled: 1-line block ×16, first 2 shown]
	s_waitcnt lgkmcnt(1)
	v_dot2c_f32_f16 v77, v109, v117
	v_dot2c_f32_f16 v76, v109, v118
	;; [unrolled: 1-line block ×16, first 2 shown]
	ds_read_b128 v[109:112], v80 offset:2560
	s_waitcnt lgkmcnt(1)
	v_dot2c_f32_f16 v63, v121, v113
	v_dot2c_f32_f16 v62, v121, v114
	;; [unrolled: 1-line block ×16, first 2 shown]
	ds_read_b128 v[113:116], v81 offset:18944
	v_dot2c_f32_f16 v61, v121, v117
	v_dot2c_f32_f16 v60, v121, v118
	;; [unrolled: 1-line block ×16, first 2 shown]
	ds_read_b128 v[117:120], v81 offset:19200
	ds_read_b128 v[121:124], v80 offset:2816
	s_waitcnt lgkmcnt(2)
	v_dot2c_f32_f16 v79, v109, v113
	v_dot2c_f32_f16 v78, v109, v114
	v_dot2c_f32_f16 v52, v109, v115
	v_dot2c_f32_f16 v51, v109, v116
	v_dot2c_f32_f16 v75, v110, v113
	v_dot2c_f32_f16 v74, v110, v114
	v_dot2c_f32_f16 v41, v110, v115
	v_dot2c_f32_f16 v40, v110, v116
	v_dot2c_f32_f16 v71, v111, v113
	v_dot2c_f32_f16 v70, v111, v114
	v_dot2c_f32_f16 v39, v111, v115
	v_dot2c_f32_f16 v38, v111, v116
	v_dot2c_f32_f16 v67, v112, v113
	v_dot2c_f32_f16 v66, v112, v114
	v_dot2c_f32_f16 v33, v112, v115
	v_dot2c_f32_f16 v32, v112, v116
	s_waitcnt lgkmcnt(1)
	v_dot2c_f32_f16 v77, v109, v117
	v_dot2c_f32_f16 v76, v109, v118
	;; [unrolled: 1-line block ×16, first 2 shown]
	ds_read_b128 v[109:112], v80 offset:3072
	s_waitcnt lgkmcnt(1)
	v_dot2c_f32_f16 v63, v121, v113
	v_dot2c_f32_f16 v62, v121, v114
	;; [unrolled: 1-line block ×16, first 2 shown]
	ds_read_b128 v[113:116], v81 offset:19456
	v_dot2c_f32_f16 v61, v121, v117
	v_dot2c_f32_f16 v60, v121, v118
	;; [unrolled: 1-line block ×16, first 2 shown]
	ds_read_b128 v[117:120], v81 offset:19712
	ds_read_b128 v[121:124], v80 offset:3328
	s_waitcnt lgkmcnt(2)
	v_dot2c_f32_f16 v79, v109, v113
	v_dot2c_f32_f16 v78, v109, v114
	;; [unrolled: 1-line block ×16, first 2 shown]
	s_waitcnt lgkmcnt(1)
	v_dot2c_f32_f16 v77, v109, v117
	v_dot2c_f32_f16 v76, v109, v118
	;; [unrolled: 1-line block ×16, first 2 shown]
	ds_read_b128 v[109:112], v80 offset:3584
	s_waitcnt lgkmcnt(1)
	v_dot2c_f32_f16 v63, v121, v113
	v_dot2c_f32_f16 v62, v121, v114
	;; [unrolled: 1-line block ×16, first 2 shown]
	ds_read_b128 v[113:116], v81 offset:19968
	v_dot2c_f32_f16 v61, v121, v117
	v_dot2c_f32_f16 v60, v121, v118
	;; [unrolled: 1-line block ×16, first 2 shown]
	ds_read_b128 v[117:120], v81 offset:20224
	ds_read_b128 v[121:124], v80 offset:3840
	s_waitcnt lgkmcnt(2)
	v_dot2c_f32_f16 v79, v109, v113
	v_dot2c_f32_f16 v78, v109, v114
	;; [unrolled: 1-line block ×16, first 2 shown]
	s_waitcnt lgkmcnt(1)
	v_dot2c_f32_f16 v77, v109, v117
	v_dot2c_f32_f16 v76, v109, v118
	;; [unrolled: 1-line block ×16, first 2 shown]
	ds_read_b128 v[109:112], v80 offset:4096
	s_waitcnt lgkmcnt(1)
	v_dot2c_f32_f16 v63, v121, v113
	v_dot2c_f32_f16 v62, v121, v114
	;; [unrolled: 1-line block ×16, first 2 shown]
	ds_read_b128 v[113:116], v81 offset:20480
	v_dot2c_f32_f16 v61, v121, v117
	v_dot2c_f32_f16 v60, v121, v118
	;; [unrolled: 1-line block ×16, first 2 shown]
	ds_read_b128 v[117:120], v81 offset:20736
	ds_read_b128 v[121:124], v80 offset:4352
	s_waitcnt lgkmcnt(2)
	v_dot2c_f32_f16 v79, v109, v113
	v_dot2c_f32_f16 v78, v109, v114
	;; [unrolled: 1-line block ×16, first 2 shown]
	s_waitcnt lgkmcnt(1)
	v_dot2c_f32_f16 v77, v109, v117
	v_dot2c_f32_f16 v76, v109, v118
	;; [unrolled: 1-line block ×16, first 2 shown]
	ds_read_b128 v[109:112], v80 offset:4608
	s_waitcnt lgkmcnt(1)
	v_dot2c_f32_f16 v63, v121, v113
	v_dot2c_f32_f16 v62, v121, v114
	;; [unrolled: 1-line block ×16, first 2 shown]
	ds_read_b128 v[113:116], v81 offset:20992
	v_dot2c_f32_f16 v61, v121, v117
	v_dot2c_f32_f16 v60, v121, v118
	;; [unrolled: 1-line block ×16, first 2 shown]
	ds_read_b128 v[117:120], v81 offset:21248
	ds_read_b128 v[121:124], v80 offset:4864
	s_waitcnt lgkmcnt(2)
	v_dot2c_f32_f16 v79, v109, v113
	v_dot2c_f32_f16 v78, v109, v114
	;; [unrolled: 1-line block ×16, first 2 shown]
	s_waitcnt lgkmcnt(1)
	v_dot2c_f32_f16 v77, v109, v117
	v_dot2c_f32_f16 v76, v109, v118
	;; [unrolled: 1-line block ×16, first 2 shown]
	ds_read_b128 v[109:112], v80 offset:5120
	s_waitcnt lgkmcnt(1)
	v_dot2c_f32_f16 v63, v121, v113
	v_dot2c_f32_f16 v62, v121, v114
	;; [unrolled: 1-line block ×16, first 2 shown]
	ds_read_b128 v[113:116], v81 offset:21504
	v_dot2c_f32_f16 v61, v121, v117
	v_dot2c_f32_f16 v60, v121, v118
	;; [unrolled: 1-line block ×16, first 2 shown]
	ds_read_b128 v[117:120], v81 offset:21760
	ds_read_b128 v[121:124], v80 offset:5376
	s_waitcnt lgkmcnt(2)
	v_dot2c_f32_f16 v79, v109, v113
	v_dot2c_f32_f16 v78, v109, v114
	;; [unrolled: 1-line block ×16, first 2 shown]
	s_waitcnt lgkmcnt(1)
	v_dot2c_f32_f16 v77, v109, v117
	v_dot2c_f32_f16 v76, v109, v118
	v_dot2c_f32_f16 v45, v109, v119
	v_dot2c_f32_f16 v44, v109, v120
	v_dot2c_f32_f16 v73, v110, v117
	v_dot2c_f32_f16 v72, v110, v118
	v_dot2c_f32_f16 v42, v110, v119
	v_dot2c_f32_f16 v43, v110, v120
	v_dot2c_f32_f16 v69, v111, v117
	v_dot2c_f32_f16 v68, v111, v118
	v_dot2c_f32_f16 v36, v111, v119
	v_dot2c_f32_f16 v37, v111, v120
	v_dot2c_f32_f16 v65, v112, v117
	v_dot2c_f32_f16 v64, v112, v118
	v_dot2c_f32_f16 v34, v112, v119
	v_dot2c_f32_f16 v35, v112, v120
	ds_read_b128 v[109:112], v80 offset:5632
	s_waitcnt lgkmcnt(1)
	v_dot2c_f32_f16 v63, v121, v113
	v_dot2c_f32_f16 v62, v121, v114
	;; [unrolled: 1-line block ×16, first 2 shown]
	ds_read_b128 v[113:116], v81 offset:22016
	v_dot2c_f32_f16 v61, v121, v117
	v_dot2c_f32_f16 v60, v121, v118
	;; [unrolled: 1-line block ×16, first 2 shown]
	ds_read_b128 v[117:120], v81 offset:22272
	ds_read_b128 v[121:124], v80 offset:5888
	s_waitcnt lgkmcnt(2)
	v_dot2c_f32_f16 v79, v109, v113
	v_dot2c_f32_f16 v78, v109, v114
	;; [unrolled: 1-line block ×16, first 2 shown]
	s_waitcnt lgkmcnt(1)
	v_dot2c_f32_f16 v77, v109, v117
	v_dot2c_f32_f16 v76, v109, v118
	;; [unrolled: 1-line block ×16, first 2 shown]
	ds_read_b128 v[109:112], v80 offset:6144
	s_waitcnt lgkmcnt(1)
	v_dot2c_f32_f16 v63, v121, v113
	v_dot2c_f32_f16 v62, v121, v114
	;; [unrolled: 1-line block ×16, first 2 shown]
	ds_read_b128 v[113:116], v81 offset:22528
	v_dot2c_f32_f16 v61, v121, v117
	v_dot2c_f32_f16 v60, v121, v118
	;; [unrolled: 1-line block ×16, first 2 shown]
	ds_read_b128 v[117:120], v81 offset:22784
	ds_read_b128 v[121:124], v80 offset:6400
	s_waitcnt lgkmcnt(2)
	v_dot2c_f32_f16 v79, v109, v113
	v_dot2c_f32_f16 v78, v109, v114
	;; [unrolled: 1-line block ×16, first 2 shown]
	s_waitcnt lgkmcnt(1)
	v_dot2c_f32_f16 v77, v109, v117
	v_dot2c_f32_f16 v76, v109, v118
	;; [unrolled: 1-line block ×16, first 2 shown]
	ds_read_b128 v[109:112], v80 offset:6656
	s_waitcnt lgkmcnt(1)
	v_dot2c_f32_f16 v63, v121, v113
	v_dot2c_f32_f16 v62, v121, v114
	;; [unrolled: 1-line block ×16, first 2 shown]
	ds_read_b128 v[113:116], v81 offset:23040
	v_dot2c_f32_f16 v61, v121, v117
	v_dot2c_f32_f16 v60, v121, v118
	;; [unrolled: 1-line block ×16, first 2 shown]
	ds_read_b128 v[117:120], v81 offset:23296
	ds_read_b128 v[121:124], v80 offset:6912
	s_waitcnt lgkmcnt(2)
	v_dot2c_f32_f16 v79, v109, v113
	v_dot2c_f32_f16 v78, v109, v114
	;; [unrolled: 1-line block ×16, first 2 shown]
	s_waitcnt lgkmcnt(1)
	v_dot2c_f32_f16 v77, v109, v117
	v_dot2c_f32_f16 v76, v109, v118
	;; [unrolled: 1-line block ×16, first 2 shown]
	ds_read_b128 v[109:112], v80 offset:7168
	s_waitcnt lgkmcnt(1)
	v_dot2c_f32_f16 v63, v121, v113
	v_dot2c_f32_f16 v62, v121, v114
	;; [unrolled: 1-line block ×16, first 2 shown]
	ds_read_b128 v[113:116], v81 offset:23552
	v_dot2c_f32_f16 v61, v121, v117
	v_dot2c_f32_f16 v60, v121, v118
	;; [unrolled: 1-line block ×16, first 2 shown]
	ds_read_b128 v[117:120], v81 offset:23808
	ds_read_b128 v[121:124], v80 offset:7424
	s_waitcnt lgkmcnt(2)
	v_dot2c_f32_f16 v79, v109, v113
	v_dot2c_f32_f16 v78, v109, v114
	;; [unrolled: 1-line block ×16, first 2 shown]
	s_waitcnt lgkmcnt(1)
	v_dot2c_f32_f16 v77, v109, v117
	v_dot2c_f32_f16 v76, v109, v118
	v_dot2c_f32_f16 v45, v109, v119
	v_dot2c_f32_f16 v44, v109, v120
	v_dot2c_f32_f16 v73, v110, v117
	v_dot2c_f32_f16 v72, v110, v118
	v_dot2c_f32_f16 v42, v110, v119
	v_dot2c_f32_f16 v43, v110, v120
	v_dot2c_f32_f16 v69, v111, v117
	v_dot2c_f32_f16 v68, v111, v118
	v_dot2c_f32_f16 v36, v111, v119
	v_dot2c_f32_f16 v37, v111, v120
	v_dot2c_f32_f16 v65, v112, v117
	v_dot2c_f32_f16 v64, v112, v118
	v_dot2c_f32_f16 v34, v112, v119
	v_dot2c_f32_f16 v35, v112, v120
	ds_read_b128 v[109:112], v80 offset:7680
	s_waitcnt lgkmcnt(1)
	v_dot2c_f32_f16 v63, v121, v113
	v_dot2c_f32_f16 v62, v121, v114
	;; [unrolled: 1-line block ×16, first 2 shown]
	ds_read_b128 v[113:116], v81 offset:24064
	v_dot2c_f32_f16 v61, v121, v117
	v_dot2c_f32_f16 v60, v121, v118
	;; [unrolled: 1-line block ×16, first 2 shown]
	ds_read_b128 v[117:120], v81 offset:24320
	ds_read_b128 v[121:124], v80 offset:7936
	ds_write2st64_b32 v3, v96, v95 offset0:32 offset1:34
	ds_write2st64_b32 v3, v94, v93 offset0:36 offset1:38
	;; [unrolled: 1-line block ×8, first 2 shown]
	v_add_nc_u32_e32 v93, s45, v10
	v_add_nc_u32_e32 v103, s53, v5
	s_waitcnt lgkmcnt(10)
	v_dot2c_f32_f16 v79, v109, v113
	v_dot2c_f32_f16 v78, v109, v114
	;; [unrolled: 1-line block ×3, first 2 shown]
	v_add_nc_u32_e32 v92, v93, v92
	v_cmp_gt_i32_e64 s1, s37, v93
	v_dot2c_f32_f16 v51, v109, v116
	v_dot2c_f32_f16 v75, v110, v113
	;; [unrolled: 1-line block ×3, first 2 shown]
	v_lshrrev_b32_e32 v101, s49, v92
	v_dot2c_f32_f16 v41, v110, v115
	v_dot2c_f32_f16 v40, v110, v116
	;; [unrolled: 1-line block ×4, first 2 shown]
	v_mad_u64_u32 v[99:100], null, s57, v101, v[93:94]
	v_sub_nc_u32_e32 v89, v101, v89
	s_waitcnt lgkmcnt(9)
	v_dot2c_f32_f16 v77, v109, v117
	v_dot2c_f32_f16 v76, v109, v118
	;; [unrolled: 1-line block ×4, first 2 shown]
	v_mul_lo_u32 v89, v89, s44
	v_sub_nc_u32_e32 v0, v99, v0
	v_dot2c_f32_f16 v39, v111, v115
	v_dot2c_f32_f16 v38, v111, v116
	;; [unrolled: 1-line block ×4, first 2 shown]
	v_mul_lo_u32 v0, v0, s18
	v_dot2c_f32_f16 v33, v112, v115
	v_add_nc_u32_e32 v100, v89, v1
	v_mul_lo_u32 v1, v89, s17
	v_dot2c_f32_f16 v32, v112, v116
	v_dot2c_f32_f16 v73, v110, v117
	;; [unrolled: 1-line block ×3, first 2 shown]
	v_cmp_gt_i32_e64 s3, s20, v100
	v_cmp_le_i32_e64 s2, s52, v100
	v_dot2c_f32_f16 v42, v110, v119
	v_dot2c_f32_f16 v43, v110, v120
	v_add3_u32 v102, v0, v1, v90
	s_and_b32 s1, s3, s1
	v_dot2c_f32_f16 v69, v111, v117
	s_and_b32 s1, s1, s2
	v_dot2c_f32_f16 v68, v111, v118
	v_lshlrev_b32_e32 v0, 1, v102
	s_and_b32 s1, s0, s1
	v_dot2c_f32_f16 v36, v111, v119
	v_dot2c_f32_f16 v37, v111, v120
	;; [unrolled: 1-line block ×3, first 2 shown]
	buffer_load_dwordx4 v[92:95], v0, s[24:27], 0 offen
	v_dot2c_f32_f16 v64, v112, v118
	v_dot2c_f32_f16 v34, v112, v119
	;; [unrolled: 1-line block ×3, first 2 shown]
	s_waitcnt lgkmcnt(8)
	v_dot2c_f32_f16 v63, v121, v113
	v_dot2c_f32_f16 v62, v121, v114
	;; [unrolled: 1-line block ×32, first 2 shown]
	s_waitcnt vmcnt(0)
	v_cndmask_b32_e64 v98, 0, v92, s1
	v_add_nc_u32_e32 v92, s45, v11
	v_cndmask_b32_e64 v95, 0, v95, s1
	v_cndmask_b32_e64 v96, 0, v94, s1
	;; [unrolled: 1-line block ×3, first 2 shown]
	s_add_i32 s45, s45, s56
	v_add_nc_u32_e32 v0, v92, v91
	v_cmp_gt_i32_e64 s1, s37, v92
	v_lshrrev_b32_e32 v1, s49, v0
	v_mul_lo_u32 v0, v1, s51
	v_mad_u64_u32 v[90:91], null, s57, v1, v[92:93]
	v_sub_nc_u32_e32 v89, v2, v0
	v_sub_nc_u32_e32 v0, v1, v101
	;; [unrolled: 1-line block ×3, first 2 shown]
	v_mul_lo_u32 v91, v0, s44
	v_mul_lo_u32 v90, v90, s18
	v_add_nc_u32_e32 v0, v91, v100
	v_mul_lo_u32 v91, v91, s17
	v_cmp_gt_i32_e64 s3, s20, v0
	v_cmp_le_i32_e64 s2, s52, v0
	v_add3_u32 v90, v90, v91, v102
	s_and_b32 s1, s3, s1
	s_and_b32 s1, s1, s2
	v_lshlrev_b32_e32 v91, 1, v90
	s_and_b32 s1, s0, s1
	buffer_load_dwordx4 v[91:94], v91, s[24:27], 0 offen
	s_waitcnt vmcnt(0)
	v_cndmask_b32_e64 v102, 0, v91, s1
	v_add_nc_u32_e32 v91, v13, v88
	v_cndmask_b32_e64 v99, 0, v94, s1
	v_cndmask_b32_e64 v100, 0, v93, s1
	;; [unrolled: 1-line block ×3, first 2 shown]
	v_cmp_gt_i32_e64 s1, s50, v103
	buffer_load_dwordx4 v[103:106], v91, s[28:31], 0 offen
	s_and_b32 s1, vcc_lo, s1
	s_waitcnt vmcnt(0)
	v_cndmask_b32_e64 v93, 0, v104, s1
	v_add_nc_u32_e32 v104, v12, v88
	v_cndmask_b32_e64 v91, 0, v106, s1
	v_cndmask_b32_e64 v94, 0, v103, s1
	v_add_nc_u32_e32 v103, s53, v4
	v_cndmask_b32_e64 v92, 0, v105, s1
	buffer_load_dwordx4 v[106:109], v104, s[28:31], 0 offen
	s_waitcnt lgkmcnt(0)
	s_barrier
	v_cmp_gt_i32_e64 s1, s50, v103
	v_add_nc_u32_e32 v88, s55, v88
	s_add_i32 s53, s53, s41
	s_and_b32 s1, vcc_lo, s1
	s_cmp_lt_i32 s54, s22
	s_waitcnt vmcnt(0)
	v_cndmask_b32_e64 v103, 0, v109, s1
	v_cndmask_b32_e64 v104, 0, v108, s1
	;; [unrolled: 1-line block ×3, first 2 shown]
	ds_read_b128 v[107:110], v80 offset:8192
	ds_read_b128 v[111:114], v81 offset:24576
	;; [unrolled: 1-line block ×4, first 2 shown]
	v_cndmask_b32_e64 v106, 0, v106, s1
	s_waitcnt lgkmcnt(2)
	v_dot2c_f32_f16 v79, v107, v111
	v_dot2c_f32_f16 v78, v107, v112
	;; [unrolled: 1-line block ×16, first 2 shown]
	s_waitcnt lgkmcnt(1)
	v_dot2c_f32_f16 v77, v107, v115
	v_dot2c_f32_f16 v76, v107, v116
	;; [unrolled: 1-line block ×16, first 2 shown]
	ds_read_b128 v[107:110], v80 offset:8704
	s_waitcnt lgkmcnt(1)
	v_dot2c_f32_f16 v63, v119, v111
	v_dot2c_f32_f16 v62, v119, v112
	;; [unrolled: 1-line block ×16, first 2 shown]
	ds_read_b128 v[111:114], v81 offset:25088
	v_dot2c_f32_f16 v61, v119, v115
	v_dot2c_f32_f16 v60, v119, v116
	;; [unrolled: 1-line block ×16, first 2 shown]
	ds_read_b128 v[115:118], v81 offset:25344
	ds_read_b128 v[119:122], v80 offset:8960
	s_waitcnt lgkmcnt(2)
	v_dot2c_f32_f16 v79, v107, v111
	v_dot2c_f32_f16 v78, v107, v112
	;; [unrolled: 1-line block ×16, first 2 shown]
	s_waitcnt lgkmcnt(1)
	v_dot2c_f32_f16 v77, v107, v115
	v_dot2c_f32_f16 v76, v107, v116
	v_dot2c_f32_f16 v45, v107, v117
	v_dot2c_f32_f16 v44, v107, v118
	v_dot2c_f32_f16 v73, v108, v115
	v_dot2c_f32_f16 v72, v108, v116
	v_dot2c_f32_f16 v42, v108, v117
	v_dot2c_f32_f16 v43, v108, v118
	v_dot2c_f32_f16 v69, v109, v115
	v_dot2c_f32_f16 v68, v109, v116
	v_dot2c_f32_f16 v36, v109, v117
	v_dot2c_f32_f16 v37, v109, v118
	v_dot2c_f32_f16 v65, v110, v115
	v_dot2c_f32_f16 v64, v110, v116
	v_dot2c_f32_f16 v34, v110, v117
	v_dot2c_f32_f16 v35, v110, v118
	ds_read_b128 v[107:110], v80 offset:9216
	s_waitcnt lgkmcnt(1)
	v_dot2c_f32_f16 v63, v119, v111
	v_dot2c_f32_f16 v62, v119, v112
	;; [unrolled: 1-line block ×16, first 2 shown]
	ds_read_b128 v[111:114], v81 offset:25600
	v_dot2c_f32_f16 v61, v119, v115
	v_dot2c_f32_f16 v60, v119, v116
	;; [unrolled: 1-line block ×16, first 2 shown]
	ds_read_b128 v[115:118], v81 offset:25856
	ds_read_b128 v[119:122], v80 offset:9472
	s_waitcnt lgkmcnt(2)
	v_dot2c_f32_f16 v79, v107, v111
	v_dot2c_f32_f16 v78, v107, v112
	;; [unrolled: 1-line block ×16, first 2 shown]
	s_waitcnt lgkmcnt(1)
	v_dot2c_f32_f16 v77, v107, v115
	v_dot2c_f32_f16 v76, v107, v116
	;; [unrolled: 1-line block ×16, first 2 shown]
	ds_read_b128 v[107:110], v80 offset:9728
	s_waitcnt lgkmcnt(1)
	v_dot2c_f32_f16 v63, v119, v111
	v_dot2c_f32_f16 v62, v119, v112
	;; [unrolled: 1-line block ×16, first 2 shown]
	ds_read_b128 v[111:114], v81 offset:26112
	v_dot2c_f32_f16 v61, v119, v115
	v_dot2c_f32_f16 v60, v119, v116
	;; [unrolled: 1-line block ×16, first 2 shown]
	ds_read_b128 v[115:118], v81 offset:26368
	ds_read_b128 v[119:122], v80 offset:9984
	s_waitcnt lgkmcnt(2)
	v_dot2c_f32_f16 v79, v107, v111
	v_dot2c_f32_f16 v78, v107, v112
	;; [unrolled: 1-line block ×16, first 2 shown]
	s_waitcnt lgkmcnt(1)
	v_dot2c_f32_f16 v77, v107, v115
	v_dot2c_f32_f16 v76, v107, v116
	v_dot2c_f32_f16 v45, v107, v117
	v_dot2c_f32_f16 v44, v107, v118
	v_dot2c_f32_f16 v73, v108, v115
	v_dot2c_f32_f16 v72, v108, v116
	v_dot2c_f32_f16 v42, v108, v117
	v_dot2c_f32_f16 v43, v108, v118
	v_dot2c_f32_f16 v69, v109, v115
	v_dot2c_f32_f16 v68, v109, v116
	v_dot2c_f32_f16 v36, v109, v117
	v_dot2c_f32_f16 v37, v109, v118
	v_dot2c_f32_f16 v65, v110, v115
	v_dot2c_f32_f16 v64, v110, v116
	v_dot2c_f32_f16 v34, v110, v117
	v_dot2c_f32_f16 v35, v110, v118
	ds_read_b128 v[107:110], v80 offset:10240
	s_waitcnt lgkmcnt(1)
	v_dot2c_f32_f16 v63, v119, v111
	v_dot2c_f32_f16 v62, v119, v112
	;; [unrolled: 1-line block ×16, first 2 shown]
	ds_read_b128 v[111:114], v81 offset:26624
	v_dot2c_f32_f16 v61, v119, v115
	v_dot2c_f32_f16 v60, v119, v116
	;; [unrolled: 1-line block ×16, first 2 shown]
	ds_read_b128 v[115:118], v81 offset:26880
	ds_read_b128 v[119:122], v80 offset:10496
	s_waitcnt lgkmcnt(2)
	v_dot2c_f32_f16 v79, v107, v111
	v_dot2c_f32_f16 v78, v107, v112
	;; [unrolled: 1-line block ×16, first 2 shown]
	s_waitcnt lgkmcnt(1)
	v_dot2c_f32_f16 v77, v107, v115
	v_dot2c_f32_f16 v76, v107, v116
	;; [unrolled: 1-line block ×16, first 2 shown]
	ds_read_b128 v[107:110], v80 offset:10752
	s_waitcnt lgkmcnt(1)
	v_dot2c_f32_f16 v63, v119, v111
	v_dot2c_f32_f16 v62, v119, v112
	v_dot2c_f32_f16 v17, v119, v113
	v_dot2c_f32_f16 v16, v119, v114
	v_dot2c_f32_f16 v58, v120, v111
	v_dot2c_f32_f16 v57, v120, v112
	v_dot2c_f32_f16 v23, v120, v113
	v_dot2c_f32_f16 v22, v120, v114
	v_dot2c_f32_f16 v50, v121, v111
	v_dot2c_f32_f16 v49, v121, v112
	v_dot2c_f32_f16 v25, v121, v113
	v_dot2c_f32_f16 v24, v121, v114
	v_dot2c_f32_f16 v46, v122, v111
	v_dot2c_f32_f16 v59, v122, v112
	v_dot2c_f32_f16 v31, v122, v113
	v_dot2c_f32_f16 v30, v122, v114
	ds_read_b128 v[111:114], v81 offset:27136
	v_dot2c_f32_f16 v61, v119, v115
	v_dot2c_f32_f16 v60, v119, v116
	;; [unrolled: 1-line block ×16, first 2 shown]
	ds_read_b128 v[115:118], v81 offset:27392
	ds_read_b128 v[119:122], v80 offset:11008
	s_waitcnt lgkmcnt(2)
	v_dot2c_f32_f16 v79, v107, v111
	v_dot2c_f32_f16 v78, v107, v112
	;; [unrolled: 1-line block ×16, first 2 shown]
	s_waitcnt lgkmcnt(1)
	v_dot2c_f32_f16 v77, v107, v115
	v_dot2c_f32_f16 v76, v107, v116
	;; [unrolled: 1-line block ×16, first 2 shown]
	ds_read_b128 v[107:110], v80 offset:11264
	s_waitcnt lgkmcnt(1)
	v_dot2c_f32_f16 v63, v119, v111
	v_dot2c_f32_f16 v62, v119, v112
	;; [unrolled: 1-line block ×16, first 2 shown]
	ds_read_b128 v[111:114], v81 offset:27648
	v_dot2c_f32_f16 v61, v119, v115
	v_dot2c_f32_f16 v60, v119, v116
	;; [unrolled: 1-line block ×16, first 2 shown]
	ds_read_b128 v[115:118], v81 offset:27904
	ds_read_b128 v[119:122], v80 offset:11520
	s_waitcnt lgkmcnt(2)
	v_dot2c_f32_f16 v79, v107, v111
	v_dot2c_f32_f16 v78, v107, v112
	;; [unrolled: 1-line block ×16, first 2 shown]
	s_waitcnt lgkmcnt(1)
	v_dot2c_f32_f16 v77, v107, v115
	v_dot2c_f32_f16 v76, v107, v116
	;; [unrolled: 1-line block ×16, first 2 shown]
	ds_read_b128 v[107:110], v80 offset:11776
	s_waitcnt lgkmcnt(1)
	v_dot2c_f32_f16 v63, v119, v111
	v_dot2c_f32_f16 v62, v119, v112
	;; [unrolled: 1-line block ×16, first 2 shown]
	ds_read_b128 v[111:114], v81 offset:28160
	v_dot2c_f32_f16 v61, v119, v115
	v_dot2c_f32_f16 v60, v119, v116
	;; [unrolled: 1-line block ×16, first 2 shown]
	ds_read_b128 v[115:118], v81 offset:28416
	ds_read_b128 v[119:122], v80 offset:12032
	s_waitcnt lgkmcnt(2)
	v_dot2c_f32_f16 v79, v107, v111
	v_dot2c_f32_f16 v78, v107, v112
	;; [unrolled: 1-line block ×16, first 2 shown]
	s_waitcnt lgkmcnt(1)
	v_dot2c_f32_f16 v77, v107, v115
	v_dot2c_f32_f16 v76, v107, v116
	;; [unrolled: 1-line block ×16, first 2 shown]
	ds_read_b128 v[107:110], v80 offset:12288
	s_waitcnt lgkmcnt(1)
	v_dot2c_f32_f16 v63, v119, v111
	v_dot2c_f32_f16 v62, v119, v112
	;; [unrolled: 1-line block ×16, first 2 shown]
	ds_read_b128 v[111:114], v81 offset:28672
	v_dot2c_f32_f16 v61, v119, v115
	v_dot2c_f32_f16 v60, v119, v116
	;; [unrolled: 1-line block ×16, first 2 shown]
	ds_read_b128 v[115:118], v81 offset:28928
	ds_read_b128 v[119:122], v80 offset:12544
	s_waitcnt lgkmcnt(2)
	v_dot2c_f32_f16 v79, v107, v111
	v_dot2c_f32_f16 v78, v107, v112
	;; [unrolled: 1-line block ×16, first 2 shown]
	s_waitcnt lgkmcnt(1)
	v_dot2c_f32_f16 v77, v107, v115
	v_dot2c_f32_f16 v76, v107, v116
	;; [unrolled: 1-line block ×16, first 2 shown]
	ds_read_b128 v[107:110], v80 offset:12800
	s_waitcnt lgkmcnt(1)
	v_dot2c_f32_f16 v63, v119, v111
	v_dot2c_f32_f16 v62, v119, v112
	;; [unrolled: 1-line block ×16, first 2 shown]
	ds_read_b128 v[111:114], v81 offset:29184
	v_dot2c_f32_f16 v61, v119, v115
	v_dot2c_f32_f16 v60, v119, v116
	;; [unrolled: 1-line block ×16, first 2 shown]
	ds_read_b128 v[115:118], v81 offset:29440
	ds_read_b128 v[119:122], v80 offset:13056
	s_waitcnt lgkmcnt(2)
	v_dot2c_f32_f16 v79, v107, v111
	v_dot2c_f32_f16 v78, v107, v112
	;; [unrolled: 1-line block ×16, first 2 shown]
	s_waitcnt lgkmcnt(1)
	v_dot2c_f32_f16 v77, v107, v115
	v_dot2c_f32_f16 v76, v107, v116
	;; [unrolled: 1-line block ×16, first 2 shown]
	ds_read_b128 v[107:110], v80 offset:13312
	s_waitcnt lgkmcnt(1)
	v_dot2c_f32_f16 v63, v119, v111
	v_dot2c_f32_f16 v62, v119, v112
	;; [unrolled: 1-line block ×16, first 2 shown]
	ds_read_b128 v[111:114], v81 offset:29696
	v_dot2c_f32_f16 v61, v119, v115
	v_dot2c_f32_f16 v60, v119, v116
	;; [unrolled: 1-line block ×16, first 2 shown]
	ds_read_b128 v[115:118], v81 offset:29952
	ds_read_b128 v[119:122], v80 offset:13568
	s_waitcnt lgkmcnt(2)
	v_dot2c_f32_f16 v79, v107, v111
	v_dot2c_f32_f16 v78, v107, v112
	;; [unrolled: 1-line block ×16, first 2 shown]
	s_waitcnt lgkmcnt(1)
	v_dot2c_f32_f16 v77, v107, v115
	v_dot2c_f32_f16 v76, v107, v116
	;; [unrolled: 1-line block ×16, first 2 shown]
	ds_read_b128 v[107:110], v80 offset:13824
	s_waitcnt lgkmcnt(1)
	v_dot2c_f32_f16 v63, v119, v111
	v_dot2c_f32_f16 v62, v119, v112
	;; [unrolled: 1-line block ×16, first 2 shown]
	ds_read_b128 v[111:114], v81 offset:30208
	v_dot2c_f32_f16 v61, v119, v115
	v_dot2c_f32_f16 v60, v119, v116
	;; [unrolled: 1-line block ×16, first 2 shown]
	ds_read_b128 v[115:118], v81 offset:30464
	ds_read_b128 v[119:122], v80 offset:14080
	s_waitcnt lgkmcnt(2)
	v_dot2c_f32_f16 v79, v107, v111
	v_dot2c_f32_f16 v78, v107, v112
	;; [unrolled: 1-line block ×16, first 2 shown]
	s_waitcnt lgkmcnt(1)
	v_dot2c_f32_f16 v77, v107, v115
	v_dot2c_f32_f16 v76, v107, v116
	;; [unrolled: 1-line block ×16, first 2 shown]
	ds_read_b128 v[107:110], v80 offset:14336
	s_waitcnt lgkmcnt(1)
	v_dot2c_f32_f16 v63, v119, v111
	v_dot2c_f32_f16 v62, v119, v112
	;; [unrolled: 1-line block ×16, first 2 shown]
	ds_read_b128 v[111:114], v81 offset:30720
	v_dot2c_f32_f16 v61, v119, v115
	v_dot2c_f32_f16 v60, v119, v116
	;; [unrolled: 1-line block ×16, first 2 shown]
	ds_read_b128 v[115:118], v81 offset:30976
	ds_read_b128 v[119:122], v80 offset:14592
	s_waitcnt lgkmcnt(2)
	v_dot2c_f32_f16 v79, v107, v111
	v_dot2c_f32_f16 v78, v107, v112
	;; [unrolled: 1-line block ×16, first 2 shown]
	s_waitcnt lgkmcnt(1)
	v_dot2c_f32_f16 v77, v107, v115
	v_dot2c_f32_f16 v76, v107, v116
	;; [unrolled: 1-line block ×16, first 2 shown]
	ds_read_b128 v[107:110], v80 offset:14848
	s_waitcnt lgkmcnt(1)
	v_dot2c_f32_f16 v63, v119, v111
	v_dot2c_f32_f16 v62, v119, v112
	;; [unrolled: 1-line block ×16, first 2 shown]
	ds_read_b128 v[111:114], v81 offset:31232
	v_dot2c_f32_f16 v61, v119, v115
	v_dot2c_f32_f16 v60, v119, v116
	;; [unrolled: 1-line block ×16, first 2 shown]
	ds_read_b128 v[115:118], v81 offset:31488
	ds_read_b128 v[119:122], v80 offset:15104
	s_waitcnt lgkmcnt(2)
	v_dot2c_f32_f16 v79, v107, v111
	v_dot2c_f32_f16 v78, v107, v112
	;; [unrolled: 1-line block ×16, first 2 shown]
	s_waitcnt lgkmcnt(1)
	v_dot2c_f32_f16 v77, v107, v115
	v_dot2c_f32_f16 v76, v107, v116
	v_dot2c_f32_f16 v45, v107, v117
	v_dot2c_f32_f16 v44, v107, v118
	v_dot2c_f32_f16 v73, v108, v115
	v_dot2c_f32_f16 v72, v108, v116
	v_dot2c_f32_f16 v42, v108, v117
	v_dot2c_f32_f16 v43, v108, v118
	v_dot2c_f32_f16 v69, v109, v115
	v_dot2c_f32_f16 v68, v109, v116
	v_dot2c_f32_f16 v36, v109, v117
	v_dot2c_f32_f16 v37, v109, v118
	v_dot2c_f32_f16 v65, v110, v115
	v_dot2c_f32_f16 v64, v110, v116
	v_dot2c_f32_f16 v34, v110, v117
	v_dot2c_f32_f16 v35, v110, v118
	ds_read_b128 v[107:110], v80 offset:15360
	s_waitcnt lgkmcnt(1)
	v_dot2c_f32_f16 v63, v119, v111
	v_dot2c_f32_f16 v62, v119, v112
	;; [unrolled: 1-line block ×16, first 2 shown]
	ds_read_b128 v[111:114], v81 offset:31744
	v_dot2c_f32_f16 v61, v119, v115
	v_dot2c_f32_f16 v60, v119, v116
	;; [unrolled: 1-line block ×16, first 2 shown]
	ds_read_b128 v[115:118], v81 offset:32000
	ds_read_b128 v[119:122], v80 offset:15616
	s_waitcnt lgkmcnt(2)
	v_dot2c_f32_f16 v79, v107, v111
	v_dot2c_f32_f16 v78, v107, v112
	;; [unrolled: 1-line block ×16, first 2 shown]
	s_waitcnt lgkmcnt(1)
	v_dot2c_f32_f16 v77, v107, v115
	v_dot2c_f32_f16 v76, v107, v116
	;; [unrolled: 1-line block ×16, first 2 shown]
	ds_read_b128 v[107:110], v80 offset:15872
	s_waitcnt lgkmcnt(1)
	v_dot2c_f32_f16 v63, v119, v111
	v_dot2c_f32_f16 v62, v119, v112
	;; [unrolled: 1-line block ×16, first 2 shown]
	ds_read_b128 v[111:114], v81 offset:32256
	v_dot2c_f32_f16 v61, v119, v115
	v_dot2c_f32_f16 v60, v119, v116
	;; [unrolled: 1-line block ×16, first 2 shown]
	ds_read_b128 v[115:118], v81 offset:32512
	ds_read_b128 v[119:122], v80 offset:16128
	ds_write2st64_b32 v3, v98, v97 offset1:2
	ds_write2st64_b32 v3, v96, v95 offset0:4 offset1:6
	ds_write2st64_b32 v3, v102, v101 offset0:8 offset1:10
	;; [unrolled: 1-line block ×7, first 2 shown]
	s_waitcnt lgkmcnt(10)
	v_dot2c_f32_f16 v79, v107, v111
	v_dot2c_f32_f16 v78, v107, v112
	v_dot2c_f32_f16 v52, v107, v113
	v_dot2c_f32_f16 v51, v107, v114
	v_dot2c_f32_f16 v75, v108, v111
	v_dot2c_f32_f16 v74, v108, v112
	v_dot2c_f32_f16 v41, v108, v113
	v_dot2c_f32_f16 v40, v108, v114
	v_dot2c_f32_f16 v71, v109, v111
	v_dot2c_f32_f16 v70, v109, v112
	v_dot2c_f32_f16 v39, v109, v113
	v_dot2c_f32_f16 v38, v109, v114
	v_dot2c_f32_f16 v67, v110, v111
	v_dot2c_f32_f16 v66, v110, v112
	v_dot2c_f32_f16 v33, v110, v113
	v_dot2c_f32_f16 v32, v110, v114
	s_waitcnt lgkmcnt(9)
	v_dot2c_f32_f16 v77, v107, v115
	v_dot2c_f32_f16 v76, v107, v116
	v_dot2c_f32_f16 v45, v107, v117
	v_dot2c_f32_f16 v44, v107, v118
	v_dot2c_f32_f16 v73, v108, v115
	v_dot2c_f32_f16 v72, v108, v116
	v_dot2c_f32_f16 v42, v108, v117
	v_dot2c_f32_f16 v43, v108, v118
	v_dot2c_f32_f16 v69, v109, v115
	v_dot2c_f32_f16 v68, v109, v116
	v_dot2c_f32_f16 v36, v109, v117
	v_dot2c_f32_f16 v37, v109, v118
	v_dot2c_f32_f16 v65, v110, v115
	v_dot2c_f32_f16 v64, v110, v116
	v_dot2c_f32_f16 v34, v110, v117
	v_dot2c_f32_f16 v35, v110, v118
	;; [unrolled: 17-line block ×3, first 2 shown]
	v_dot2c_f32_f16 v61, v119, v115
	v_dot2c_f32_f16 v60, v119, v116
	;; [unrolled: 1-line block ×16, first 2 shown]
	s_cbranch_scc1 .LBB2_1
; %bb.2:
	s_waitcnt lgkmcnt(0)
	s_barrier
	buffer_gl0_inv
	ds_read_b128 v[0:3], v80
	ds_read_b128 v[4:7], v81 offset:16384
	ds_read_b128 v[8:11], v81 offset:16640
	;; [unrolled: 1-line block ×5, first 2 shown]
	s_mul_i32 s0, s14, s47
	s_mul_hi_u32 s1, s14, s46
	v_lshl_or_b32 v83, s33, 7, v83
	s_add_i32 s2, s1, s0
	s_load_dwordx2 s[0:1], s[4:5], 0x10
	s_mul_i32 s3, s15, s46
	v_lshl_add_u32 v82, s23, 7, v82
	s_add_i32 s3, s2, s3
	s_mul_i32 s2, s14, s46
	s_mul_hi_u32 s6, s12, s46
	s_lshl_b64 s[2:3], s[2:3], 1
	v_cmp_gt_i32_e32 vcc_lo, s21, v82
	s_add_u32 s4, s42, s2
	s_mul_i32 s2, s12, s47
	s_addc_u32 s5, s43, s3
	s_waitcnt lgkmcnt(0)
	v_dot2c_f32_f16 v79, v0, v4
	v_dot2c_f32_f16 v78, v0, v5
	;; [unrolled: 1-line block ×32, first 2 shown]
	ds_read_b128 v[0:3], v80 offset:512
	v_dot2c_f32_f16 v63, v12, v4
	v_dot2c_f32_f16 v62, v12, v5
	;; [unrolled: 1-line block ×30, first 2 shown]
	ds_read_b128 v[4:7], v81 offset:17152
	v_dot2c_f32_f16 v28, v15, v10
	v_dot2c_f32_f16 v29, v15, v11
	ds_read_b128 v[8:11], v80 offset:768
	s_waitcnt lgkmcnt(2)
	v_dot2c_f32_f16 v79, v0, v84
	v_dot2c_f32_f16 v78, v0, v85
	v_dot2c_f32_f16 v52, v0, v86
	v_dot2c_f32_f16 v51, v0, v87
	v_dot2c_f32_f16 v75, v1, v84
	v_dot2c_f32_f16 v74, v1, v85
	v_dot2c_f32_f16 v41, v1, v86
	v_dot2c_f32_f16 v40, v1, v87
	v_dot2c_f32_f16 v71, v2, v84
	v_dot2c_f32_f16 v70, v2, v85
	v_dot2c_f32_f16 v39, v2, v86
	v_dot2c_f32_f16 v38, v2, v87
	v_dot2c_f32_f16 v67, v3, v84
	v_dot2c_f32_f16 v66, v3, v85
	v_dot2c_f32_f16 v33, v3, v86
	v_dot2c_f32_f16 v32, v3, v87
	ds_read_b128 v[12:15], v81 offset:17408
	s_waitcnt lgkmcnt(2)
	v_dot2c_f32_f16 v77, v0, v4
	v_dot2c_f32_f16 v76, v0, v5
	v_dot2c_f32_f16 v45, v0, v6
	v_dot2c_f32_f16 v44, v0, v7
	v_dot2c_f32_f16 v73, v1, v4
	v_dot2c_f32_f16 v72, v1, v5
	v_dot2c_f32_f16 v42, v1, v6
	v_dot2c_f32_f16 v43, v1, v7
	v_dot2c_f32_f16 v69, v2, v4
	v_dot2c_f32_f16 v68, v2, v5
	v_dot2c_f32_f16 v36, v2, v6
	v_dot2c_f32_f16 v37, v2, v7
	v_dot2c_f32_f16 v65, v3, v4
	v_dot2c_f32_f16 v64, v3, v5
	;; [unrolled: 18-line block ×3, first 2 shown]
	v_dot2c_f32_f16 v31, v11, v86
	v_dot2c_f32_f16 v30, v11, v87
	;; [unrolled: 1-line block ×16, first 2 shown]
	ds_read_b128 v[84:87], v81 offset:17664
	v_dot2c_f32_f16 v28, v11, v6
	v_dot2c_f32_f16 v29, v11, v7
	ds_read_b128 v[4:7], v80 offset:1280
	s_waitcnt lgkmcnt(2)
	v_dot2c_f32_f16 v79, v0, v12
	v_dot2c_f32_f16 v78, v0, v13
	v_dot2c_f32_f16 v52, v0, v14
	v_dot2c_f32_f16 v51, v0, v15
	v_dot2c_f32_f16 v75, v1, v12
	v_dot2c_f32_f16 v74, v1, v13
	v_dot2c_f32_f16 v41, v1, v14
	v_dot2c_f32_f16 v40, v1, v15
	v_dot2c_f32_f16 v71, v2, v12
	v_dot2c_f32_f16 v70, v2, v13
	v_dot2c_f32_f16 v39, v2, v14
	v_dot2c_f32_f16 v38, v2, v15
	v_dot2c_f32_f16 v67, v3, v12
	v_dot2c_f32_f16 v66, v3, v13
	v_dot2c_f32_f16 v33, v3, v14
	v_dot2c_f32_f16 v32, v3, v15
	ds_read_b128 v[8:11], v81 offset:17920
	s_waitcnt lgkmcnt(2)
	v_dot2c_f32_f16 v77, v0, v84
	v_dot2c_f32_f16 v76, v0, v85
	v_dot2c_f32_f16 v45, v0, v86
	v_dot2c_f32_f16 v44, v0, v87
	v_dot2c_f32_f16 v73, v1, v84
	v_dot2c_f32_f16 v72, v1, v85
	v_dot2c_f32_f16 v42, v1, v86
	v_dot2c_f32_f16 v43, v1, v87
	v_dot2c_f32_f16 v69, v2, v84
	v_dot2c_f32_f16 v68, v2, v85
	v_dot2c_f32_f16 v36, v2, v86
	v_dot2c_f32_f16 v37, v2, v87
	v_dot2c_f32_f16 v65, v3, v84
	v_dot2c_f32_f16 v64, v3, v85
	;; [unrolled: 18-line block ×3, first 2 shown]
	v_dot2c_f32_f16 v31, v7, v14
	v_dot2c_f32_f16 v30, v7, v15
	;; [unrolled: 1-line block ×16, first 2 shown]
	ds_read_b128 v[12:15], v81 offset:18176
	v_dot2c_f32_f16 v28, v7, v86
	v_dot2c_f32_f16 v29, v7, v87
	ds_read_b128 v[4:7], v80 offset:1792
	s_waitcnt lgkmcnt(2)
	v_dot2c_f32_f16 v79, v0, v8
	v_dot2c_f32_f16 v78, v0, v9
	v_dot2c_f32_f16 v52, v0, v10
	v_dot2c_f32_f16 v51, v0, v11
	v_dot2c_f32_f16 v75, v1, v8
	v_dot2c_f32_f16 v74, v1, v9
	v_dot2c_f32_f16 v41, v1, v10
	v_dot2c_f32_f16 v40, v1, v11
	v_dot2c_f32_f16 v71, v2, v8
	v_dot2c_f32_f16 v70, v2, v9
	v_dot2c_f32_f16 v39, v2, v10
	v_dot2c_f32_f16 v38, v2, v11
	v_dot2c_f32_f16 v67, v3, v8
	v_dot2c_f32_f16 v66, v3, v9
	v_dot2c_f32_f16 v33, v3, v10
	v_dot2c_f32_f16 v32, v3, v11
	ds_read_b128 v[84:87], v81 offset:18432
	s_waitcnt lgkmcnt(2)
	v_dot2c_f32_f16 v77, v0, v12
	v_dot2c_f32_f16 v76, v0, v13
	v_dot2c_f32_f16 v45, v0, v14
	v_dot2c_f32_f16 v44, v0, v15
	v_dot2c_f32_f16 v73, v1, v12
	v_dot2c_f32_f16 v72, v1, v13
	v_dot2c_f32_f16 v42, v1, v14
	v_dot2c_f32_f16 v43, v1, v15
	v_dot2c_f32_f16 v69, v2, v12
	v_dot2c_f32_f16 v68, v2, v13
	v_dot2c_f32_f16 v36, v2, v14
	v_dot2c_f32_f16 v37, v2, v15
	v_dot2c_f32_f16 v65, v3, v12
	v_dot2c_f32_f16 v64, v3, v13
	;; [unrolled: 18-line block ×3, first 2 shown]
	v_dot2c_f32_f16 v31, v7, v10
	v_dot2c_f32_f16 v30, v7, v11
	;; [unrolled: 1-line block ×16, first 2 shown]
	ds_read_b128 v[8:11], v81 offset:18688
	v_dot2c_f32_f16 v28, v7, v14
	v_dot2c_f32_f16 v29, v7, v15
	ds_read_b128 v[4:7], v80 offset:2304
	s_waitcnt lgkmcnt(2)
	v_dot2c_f32_f16 v79, v0, v84
	v_dot2c_f32_f16 v78, v0, v85
	v_dot2c_f32_f16 v52, v0, v86
	v_dot2c_f32_f16 v51, v0, v87
	v_dot2c_f32_f16 v75, v1, v84
	v_dot2c_f32_f16 v74, v1, v85
	v_dot2c_f32_f16 v41, v1, v86
	v_dot2c_f32_f16 v40, v1, v87
	v_dot2c_f32_f16 v71, v2, v84
	v_dot2c_f32_f16 v70, v2, v85
	v_dot2c_f32_f16 v39, v2, v86
	v_dot2c_f32_f16 v38, v2, v87
	v_dot2c_f32_f16 v67, v3, v84
	v_dot2c_f32_f16 v66, v3, v85
	v_dot2c_f32_f16 v33, v3, v86
	v_dot2c_f32_f16 v32, v3, v87
	ds_read_b128 v[12:15], v81 offset:18944
	s_waitcnt lgkmcnt(2)
	v_dot2c_f32_f16 v77, v0, v8
	v_dot2c_f32_f16 v76, v0, v9
	v_dot2c_f32_f16 v45, v0, v10
	v_dot2c_f32_f16 v44, v0, v11
	v_dot2c_f32_f16 v73, v1, v8
	v_dot2c_f32_f16 v72, v1, v9
	v_dot2c_f32_f16 v42, v1, v10
	v_dot2c_f32_f16 v43, v1, v11
	v_dot2c_f32_f16 v69, v2, v8
	v_dot2c_f32_f16 v68, v2, v9
	v_dot2c_f32_f16 v36, v2, v10
	v_dot2c_f32_f16 v37, v2, v11
	v_dot2c_f32_f16 v65, v3, v8
	v_dot2c_f32_f16 v64, v3, v9
	;; [unrolled: 18-line block ×3, first 2 shown]
	v_dot2c_f32_f16 v31, v7, v86
	v_dot2c_f32_f16 v30, v7, v87
	;; [unrolled: 1-line block ×16, first 2 shown]
	ds_read_b128 v[84:87], v81 offset:19200
	v_dot2c_f32_f16 v28, v7, v10
	v_dot2c_f32_f16 v29, v7, v11
	ds_read_b128 v[4:7], v80 offset:2816
	s_waitcnt lgkmcnt(2)
	v_dot2c_f32_f16 v79, v0, v12
	v_dot2c_f32_f16 v78, v0, v13
	v_dot2c_f32_f16 v52, v0, v14
	v_dot2c_f32_f16 v51, v0, v15
	v_dot2c_f32_f16 v75, v1, v12
	v_dot2c_f32_f16 v74, v1, v13
	v_dot2c_f32_f16 v41, v1, v14
	v_dot2c_f32_f16 v40, v1, v15
	v_dot2c_f32_f16 v71, v2, v12
	v_dot2c_f32_f16 v70, v2, v13
	v_dot2c_f32_f16 v39, v2, v14
	v_dot2c_f32_f16 v38, v2, v15
	v_dot2c_f32_f16 v67, v3, v12
	v_dot2c_f32_f16 v66, v3, v13
	v_dot2c_f32_f16 v33, v3, v14
	v_dot2c_f32_f16 v32, v3, v15
	ds_read_b128 v[8:11], v81 offset:19456
	s_waitcnt lgkmcnt(2)
	v_dot2c_f32_f16 v77, v0, v84
	v_dot2c_f32_f16 v76, v0, v85
	v_dot2c_f32_f16 v45, v0, v86
	v_dot2c_f32_f16 v44, v0, v87
	v_dot2c_f32_f16 v73, v1, v84
	v_dot2c_f32_f16 v72, v1, v85
	v_dot2c_f32_f16 v42, v1, v86
	v_dot2c_f32_f16 v43, v1, v87
	v_dot2c_f32_f16 v69, v2, v84
	v_dot2c_f32_f16 v68, v2, v85
	v_dot2c_f32_f16 v36, v2, v86
	v_dot2c_f32_f16 v37, v2, v87
	v_dot2c_f32_f16 v65, v3, v84
	v_dot2c_f32_f16 v64, v3, v85
	;; [unrolled: 18-line block ×3, first 2 shown]
	v_dot2c_f32_f16 v31, v7, v14
	v_dot2c_f32_f16 v30, v7, v15
	;; [unrolled: 1-line block ×16, first 2 shown]
	ds_read_b128 v[12:15], v81 offset:19712
	v_dot2c_f32_f16 v28, v7, v86
	v_dot2c_f32_f16 v29, v7, v87
	ds_read_b128 v[4:7], v80 offset:3328
	s_waitcnt lgkmcnt(2)
	v_dot2c_f32_f16 v79, v0, v8
	v_dot2c_f32_f16 v78, v0, v9
	v_dot2c_f32_f16 v52, v0, v10
	v_dot2c_f32_f16 v51, v0, v11
	v_dot2c_f32_f16 v75, v1, v8
	v_dot2c_f32_f16 v74, v1, v9
	v_dot2c_f32_f16 v41, v1, v10
	v_dot2c_f32_f16 v40, v1, v11
	v_dot2c_f32_f16 v71, v2, v8
	v_dot2c_f32_f16 v70, v2, v9
	v_dot2c_f32_f16 v39, v2, v10
	v_dot2c_f32_f16 v38, v2, v11
	v_dot2c_f32_f16 v67, v3, v8
	v_dot2c_f32_f16 v66, v3, v9
	v_dot2c_f32_f16 v33, v3, v10
	v_dot2c_f32_f16 v32, v3, v11
	ds_read_b128 v[84:87], v81 offset:19968
	s_waitcnt lgkmcnt(2)
	v_dot2c_f32_f16 v77, v0, v12
	v_dot2c_f32_f16 v76, v0, v13
	v_dot2c_f32_f16 v45, v0, v14
	v_dot2c_f32_f16 v44, v0, v15
	v_dot2c_f32_f16 v73, v1, v12
	v_dot2c_f32_f16 v72, v1, v13
	v_dot2c_f32_f16 v42, v1, v14
	v_dot2c_f32_f16 v43, v1, v15
	v_dot2c_f32_f16 v69, v2, v12
	v_dot2c_f32_f16 v68, v2, v13
	v_dot2c_f32_f16 v36, v2, v14
	v_dot2c_f32_f16 v37, v2, v15
	v_dot2c_f32_f16 v65, v3, v12
	v_dot2c_f32_f16 v64, v3, v13
	;; [unrolled: 18-line block ×3, first 2 shown]
	v_dot2c_f32_f16 v31, v7, v10
	v_dot2c_f32_f16 v30, v7, v11
	;; [unrolled: 1-line block ×16, first 2 shown]
	ds_read_b128 v[8:11], v81 offset:20224
	v_dot2c_f32_f16 v28, v7, v14
	v_dot2c_f32_f16 v29, v7, v15
	ds_read_b128 v[4:7], v80 offset:3840
	s_waitcnt lgkmcnt(2)
	v_dot2c_f32_f16 v79, v0, v84
	v_dot2c_f32_f16 v78, v0, v85
	v_dot2c_f32_f16 v52, v0, v86
	v_dot2c_f32_f16 v51, v0, v87
	v_dot2c_f32_f16 v75, v1, v84
	v_dot2c_f32_f16 v74, v1, v85
	v_dot2c_f32_f16 v41, v1, v86
	v_dot2c_f32_f16 v40, v1, v87
	v_dot2c_f32_f16 v71, v2, v84
	v_dot2c_f32_f16 v70, v2, v85
	v_dot2c_f32_f16 v39, v2, v86
	v_dot2c_f32_f16 v38, v2, v87
	v_dot2c_f32_f16 v67, v3, v84
	v_dot2c_f32_f16 v66, v3, v85
	v_dot2c_f32_f16 v33, v3, v86
	v_dot2c_f32_f16 v32, v3, v87
	ds_read_b128 v[12:15], v81 offset:20480
	s_waitcnt lgkmcnt(2)
	v_dot2c_f32_f16 v77, v0, v8
	v_dot2c_f32_f16 v76, v0, v9
	v_dot2c_f32_f16 v45, v0, v10
	v_dot2c_f32_f16 v44, v0, v11
	v_dot2c_f32_f16 v73, v1, v8
	v_dot2c_f32_f16 v72, v1, v9
	v_dot2c_f32_f16 v42, v1, v10
	v_dot2c_f32_f16 v43, v1, v11
	v_dot2c_f32_f16 v69, v2, v8
	v_dot2c_f32_f16 v68, v2, v9
	v_dot2c_f32_f16 v36, v2, v10
	v_dot2c_f32_f16 v37, v2, v11
	v_dot2c_f32_f16 v65, v3, v8
	v_dot2c_f32_f16 v64, v3, v9
	;; [unrolled: 18-line block ×3, first 2 shown]
	v_dot2c_f32_f16 v31, v7, v86
	v_dot2c_f32_f16 v30, v7, v87
	;; [unrolled: 1-line block ×16, first 2 shown]
	ds_read_b128 v[84:87], v81 offset:20736
	v_dot2c_f32_f16 v28, v7, v10
	v_dot2c_f32_f16 v29, v7, v11
	ds_read_b128 v[4:7], v80 offset:4352
	s_waitcnt lgkmcnt(2)
	v_dot2c_f32_f16 v79, v0, v12
	v_dot2c_f32_f16 v78, v0, v13
	v_dot2c_f32_f16 v52, v0, v14
	v_dot2c_f32_f16 v51, v0, v15
	v_dot2c_f32_f16 v75, v1, v12
	v_dot2c_f32_f16 v74, v1, v13
	v_dot2c_f32_f16 v41, v1, v14
	v_dot2c_f32_f16 v40, v1, v15
	v_dot2c_f32_f16 v71, v2, v12
	v_dot2c_f32_f16 v70, v2, v13
	v_dot2c_f32_f16 v39, v2, v14
	v_dot2c_f32_f16 v38, v2, v15
	v_dot2c_f32_f16 v67, v3, v12
	v_dot2c_f32_f16 v66, v3, v13
	v_dot2c_f32_f16 v33, v3, v14
	v_dot2c_f32_f16 v32, v3, v15
	ds_read_b128 v[8:11], v81 offset:20992
	s_waitcnt lgkmcnt(2)
	v_dot2c_f32_f16 v77, v0, v84
	v_dot2c_f32_f16 v76, v0, v85
	v_dot2c_f32_f16 v45, v0, v86
	v_dot2c_f32_f16 v44, v0, v87
	v_dot2c_f32_f16 v73, v1, v84
	v_dot2c_f32_f16 v72, v1, v85
	v_dot2c_f32_f16 v42, v1, v86
	v_dot2c_f32_f16 v43, v1, v87
	v_dot2c_f32_f16 v69, v2, v84
	v_dot2c_f32_f16 v68, v2, v85
	v_dot2c_f32_f16 v36, v2, v86
	v_dot2c_f32_f16 v37, v2, v87
	v_dot2c_f32_f16 v65, v3, v84
	v_dot2c_f32_f16 v64, v3, v85
	;; [unrolled: 18-line block ×3, first 2 shown]
	v_dot2c_f32_f16 v31, v7, v14
	v_dot2c_f32_f16 v30, v7, v15
	;; [unrolled: 1-line block ×16, first 2 shown]
	ds_read_b128 v[12:15], v81 offset:21248
	v_dot2c_f32_f16 v28, v7, v86
	v_dot2c_f32_f16 v29, v7, v87
	ds_read_b128 v[4:7], v80 offset:4864
	s_waitcnt lgkmcnt(2)
	v_dot2c_f32_f16 v79, v0, v8
	v_dot2c_f32_f16 v78, v0, v9
	v_dot2c_f32_f16 v52, v0, v10
	v_dot2c_f32_f16 v51, v0, v11
	v_dot2c_f32_f16 v75, v1, v8
	v_dot2c_f32_f16 v74, v1, v9
	v_dot2c_f32_f16 v41, v1, v10
	v_dot2c_f32_f16 v40, v1, v11
	v_dot2c_f32_f16 v71, v2, v8
	v_dot2c_f32_f16 v70, v2, v9
	v_dot2c_f32_f16 v39, v2, v10
	v_dot2c_f32_f16 v38, v2, v11
	v_dot2c_f32_f16 v67, v3, v8
	v_dot2c_f32_f16 v66, v3, v9
	v_dot2c_f32_f16 v33, v3, v10
	v_dot2c_f32_f16 v32, v3, v11
	ds_read_b128 v[84:87], v81 offset:21504
	s_waitcnt lgkmcnt(2)
	v_dot2c_f32_f16 v77, v0, v12
	v_dot2c_f32_f16 v76, v0, v13
	v_dot2c_f32_f16 v45, v0, v14
	v_dot2c_f32_f16 v44, v0, v15
	v_dot2c_f32_f16 v73, v1, v12
	v_dot2c_f32_f16 v72, v1, v13
	v_dot2c_f32_f16 v42, v1, v14
	v_dot2c_f32_f16 v43, v1, v15
	v_dot2c_f32_f16 v69, v2, v12
	v_dot2c_f32_f16 v68, v2, v13
	v_dot2c_f32_f16 v36, v2, v14
	v_dot2c_f32_f16 v37, v2, v15
	v_dot2c_f32_f16 v65, v3, v12
	v_dot2c_f32_f16 v64, v3, v13
	;; [unrolled: 18-line block ×3, first 2 shown]
	v_dot2c_f32_f16 v31, v7, v10
	v_dot2c_f32_f16 v30, v7, v11
	ds_read_b128 v[8:11], v81 offset:21760
	v_dot2c_f32_f16 v61, v4, v12
	v_dot2c_f32_f16 v60, v4, v13
	;; [unrolled: 1-line block ×16, first 2 shown]
	s_waitcnt lgkmcnt(1)
	v_dot2c_f32_f16 v79, v0, v84
	v_dot2c_f32_f16 v78, v0, v85
	;; [unrolled: 1-line block ×16, first 2 shown]
	ds_read_b128 v[12:15], v81 offset:22016
	s_waitcnt lgkmcnt(1)
	v_dot2c_f32_f16 v77, v0, v8
	v_dot2c_f32_f16 v76, v0, v9
	;; [unrolled: 1-line block ×16, first 2 shown]
	ds_read_b128 v[0:3], v80 offset:5632
	v_dot2c_f32_f16 v61, v88, v8
	v_dot2c_f32_f16 v60, v88, v9
	;; [unrolled: 1-line block ×14, first 2 shown]
	ds_read_b128 v[4:7], v81 offset:22272
	v_dot2c_f32_f16 v28, v91, v10
	v_dot2c_f32_f16 v29, v91, v11
	ds_read_b128 v[8:11], v80 offset:5888
	v_dot2c_f32_f16 v63, v88, v84
	v_dot2c_f32_f16 v58, v89, v84
	;; [unrolled: 1-line block ×4, first 2 shown]
	v_mul_lo_u32 v84, v83, s38
	v_dot2c_f32_f16 v62, v88, v85
	v_dot2c_f32_f16 v57, v89, v85
	;; [unrolled: 1-line block ×4, first 2 shown]
	s_add_i32 s2, s6, s2
	s_mul_i32 s3, s13, s46
	v_dot2c_f32_f16 v17, v88, v86
	v_mad_u64_u32 v[84:85], null, v82, s39, v[84:85]
	v_dot2c_f32_f16 v16, v88, v87
	s_add_i32 s3, s2, s3
	s_mul_i32 s2, s12, s46
	s_waitcnt lgkmcnt(2)
	v_dot2c_f32_f16 v79, v0, v12
	s_lshl_b64 s[2:3], s[2:3], 1
	v_dot2c_f32_f16 v78, v0, v13
	s_add_u32 s0, s0, s2
	v_dot2c_f32_f16 v52, v0, v14
	v_dot2c_f32_f16 v51, v0, v15
	;; [unrolled: 1-line block ×14, first 2 shown]
	s_waitcnt lgkmcnt(1)
	v_dot2c_f32_f16 v77, v0, v4
	v_dot2c_f32_f16 v76, v0, v5
	;; [unrolled: 1-line block ×16, first 2 shown]
	ds_read_b128 v[0:3], v80 offset:6144
	s_waitcnt lgkmcnt(1)
	v_dot2c_f32_f16 v63, v8, v12
	v_dot2c_f32_f16 v62, v8, v13
	;; [unrolled: 1-line block ×8, first 2 shown]
	v_lshlrev_b32_e32 v8, 1, v84
	s_addc_u32 s1, s1, s3
	s_lshl_b32 s2, s40, 1
	s_and_b32 s1, s1, 0xffff
	s_mov_b32 s3, 0x31014000
	v_dot2c_f32_f16 v23, v89, v86
	v_dot2c_f32_f16 v22, v89, v87
	buffer_load_dwordx2 v[88:89], v8, s[0:3], 0 offen
	s_lshl_b32 s6, s39, 6
	v_dot2c_f32_f16 v25, v90, v86
	v_add_lshl_u32 v8, v84, s6, 1
	v_dot2c_f32_f16 v24, v90, v87
	v_dot2c_f32_f16 v31, v91, v86
	;; [unrolled: 1-line block ×3, first 2 shown]
	v_add_nc_u32_e32 v84, s38, v84
	buffer_load_dwordx2 v[90:91], v8, s[0:3], 0 offen
	v_dot2c_f32_f16 v58, v9, v12
	v_dot2c_f32_f16 v57, v9, v13
	;; [unrolled: 1-line block ×3, first 2 shown]
	v_lshlrev_b32_e32 v85, 1, v84
	v_dot2c_f32_f16 v22, v9, v15
	v_dot2c_f32_f16 v50, v10, v12
	;; [unrolled: 1-line block ×4, first 2 shown]
	buffer_load_dwordx2 v[92:93], v85, s[0:3], 0 offen
	v_dot2c_f32_f16 v24, v10, v15
	v_dot2c_f32_f16 v46, v11, v12
	;; [unrolled: 1-line block ×5, first 2 shown]
	ds_read_b128 v[12:15], v81 offset:22528
	v_dot2c_f32_f16 v56, v9, v4
	v_dot2c_f32_f16 v54, v9, v5
	;; [unrolled: 1-line block ×12, first 2 shown]
	ds_read_b128 v[4:7], v81 offset:22784
	v_add_lshl_u32 v86, v84, s6, 1
	v_add_nc_u32_e32 v84, s38, v84
	s_and_b32 s5, s5, 0xffff
	s_mov_b32 s7, s3
	buffer_load_dwordx2 v[94:95], v86, s[0:3], 0 offen
	v_lshlrev_b32_e32 v85, 1, v84
	v_add_lshl_u32 v86, v84, s6, 1
	v_add_nc_u32_e32 v84, s38, v84
	s_waitcnt lgkmcnt(1)
	v_dot2c_f32_f16 v79, v0, v12
	v_dot2c_f32_f16 v78, v0, v13
	s_clause 0x1
	buffer_load_dwordx2 v[96:97], v85, s[0:3], 0 offen
	buffer_load_dwordx2 v[98:99], v86, s[0:3], 0 offen
	v_dot2c_f32_f16 v52, v0, v14
	v_dot2c_f32_f16 v51, v0, v15
	v_add_lshl_u32 v85, v84, s6, 1
	v_dot2c_f32_f16 v75, v1, v12
	v_dot2c_f32_f16 v74, v1, v13
	;; [unrolled: 1-line block ×3, first 2 shown]
	s_waitcnt lgkmcnt(0)
	v_dot2c_f32_f16 v77, v0, v4
	v_dot2c_f32_f16 v76, v0, v5
	v_dot2c_f32_f16 v45, v0, v6
	v_dot2c_f32_f16 v44, v0, v7
	v_lshlrev_b32_e32 v0, 1, v84
	buffer_load_dwordx2 v[102:103], v85, s[0:3], 0 offen
	v_mad_u64_u32 v[84:85], null, s38, 61, v[84:85]
	v_dot2c_f32_f16 v40, v1, v15
	buffer_load_dwordx2 v[100:101], v0, s[0:3], 0 offen
	ds_read_b128 v[8:11], v80 offset:6400
	v_dot2c_f32_f16 v71, v2, v12
	v_dot2c_f32_f16 v70, v2, v13
	;; [unrolled: 1-line block ×3, first 2 shown]
	v_lshlrev_b32_e32 v85, 1, v84
	v_add_lshl_u32 v86, v84, s6, 1
	v_add_nc_u32_e32 v84, s38, v84
	v_dot2c_f32_f16 v38, v2, v15
	v_dot2c_f32_f16 v67, v3, v12
	s_clause 0x1
	buffer_load_dwordx2 v[104:105], v85, s[0:3], 0 offen
	buffer_load_dwordx2 v[106:107], v86, s[0:3], 0 offen
	v_dot2c_f32_f16 v66, v3, v13
	v_dot2c_f32_f16 v33, v3, v14
	;; [unrolled: 1-line block ×15, first 2 shown]
	ds_read_b128 v[0:3], v80 offset:6656
	s_waitcnt lgkmcnt(1)
	v_dot2c_f32_f16 v63, v8, v12
	v_dot2c_f32_f16 v62, v8, v13
	;; [unrolled: 1-line block ×16, first 2 shown]
	v_lshlrev_b32_e32 v8, 1, v84
	v_add_lshl_u32 v9, v84, s6, 1
	v_dot2c_f32_f16 v50, v10, v12
	v_dot2c_f32_f16 v49, v10, v13
	;; [unrolled: 1-line block ×8, first 2 shown]
	ds_read_b128 v[12:15], v81 offset:23040
	v_dot2c_f32_f16 v48, v10, v4
	v_dot2c_f32_f16 v47, v10, v5
	;; [unrolled: 1-line block ×5, first 2 shown]
	s_clause 0x1
	buffer_load_dwordx2 v[108:109], v8, s[0:3], 0 offen
	buffer_load_dwordx2 v[110:111], v9, s[0:3], 0 offen
	v_dot2c_f32_f16 v53, v11, v5
	v_dot2c_f32_f16 v28, v11, v6
	;; [unrolled: 1-line block ×3, first 2 shown]
	ds_read_b128 v[4:7], v81 offset:23296
	ds_read_b128 v[8:11], v80 offset:6912
	v_add_nc_u32_e32 v84, s38, v84
	v_lshlrev_b32_e32 v85, 1, v84
	s_waitcnt lgkmcnt(2)
	v_dot2c_f32_f16 v79, v0, v12
	v_dot2c_f32_f16 v78, v0, v13
	buffer_load_dwordx2 v[112:113], v85, s[0:3], 0 offen
	v_add_lshl_u32 v85, v84, s6, 1
	v_add_nc_u32_e32 v84, s38, v84
	v_dot2c_f32_f16 v52, v0, v14
	v_dot2c_f32_f16 v51, v0, v15
	;; [unrolled: 1-line block ×3, first 2 shown]
	buffer_load_dwordx2 v[114:115], v85, s[0:3], 0 offen
	v_dot2c_f32_f16 v74, v1, v13
	s_waitcnt lgkmcnt(1)
	v_dot2c_f32_f16 v77, v0, v4
	v_dot2c_f32_f16 v76, v0, v5
	;; [unrolled: 1-line block ×4, first 2 shown]
	v_add_lshl_u32 v0, v84, s6, 1
	v_dot2c_f32_f16 v41, v1, v14
	v_dot2c_f32_f16 v40, v1, v15
	;; [unrolled: 1-line block ×4, first 2 shown]
	buffer_load_dwordx2 v[118:119], v0, s[0:3], 0 offen
	v_lshlrev_b32_e32 v85, 1, v84
	v_dot2c_f32_f16 v39, v2, v14
	v_dot2c_f32_f16 v38, v2, v15
	;; [unrolled: 1-line block ×4, first 2 shown]
	buffer_load_dwordx2 v[116:117], v85, s[0:3], 0 offen
	v_dot2c_f32_f16 v33, v3, v14
	v_dot2c_f32_f16 v32, v3, v15
	v_dot2c_f32_f16 v73, v1, v4
	v_dot2c_f32_f16 v72, v1, v5
	v_dot2c_f32_f16 v42, v1, v6
	v_dot2c_f32_f16 v43, v1, v7
	v_dot2c_f32_f16 v69, v2, v4
	v_dot2c_f32_f16 v68, v2, v5
	v_dot2c_f32_f16 v36, v2, v6
	v_dot2c_f32_f16 v37, v2, v7
	v_dot2c_f32_f16 v65, v3, v4
	v_dot2c_f32_f16 v64, v3, v5
	v_dot2c_f32_f16 v34, v3, v6
	v_dot2c_f32_f16 v35, v3, v7
	ds_read_b128 v[0:3], v80 offset:7168
	s_waitcnt lgkmcnt(1)
	v_dot2c_f32_f16 v63, v8, v12
	v_dot2c_f32_f16 v62, v8, v13
	;; [unrolled: 1-line block ×15, first 2 shown]
	ds_read_b128 v[84:87], v81 offset:23552
	v_dot2c_f32_f16 v30, v11, v15
	v_dot2c_f32_f16 v61, v8, v4
	v_dot2c_f32_f16 v60, v8, v5
	v_dot2c_f32_f16 v19, v8, v6
	v_dot2c_f32_f16 v18, v8, v7
	v_dot2c_f32_f16 v56, v9, v4
	v_dot2c_f32_f16 v54, v9, v5
	v_dot2c_f32_f16 v21, v9, v6
	v_dot2c_f32_f16 v20, v9, v7
	v_dot2c_f32_f16 v48, v10, v4
	v_dot2c_f32_f16 v47, v10, v5
	v_dot2c_f32_f16 v27, v10, v6
	v_dot2c_f32_f16 v26, v10, v7
	v_dot2c_f32_f16 v55, v11, v4
	v_dot2c_f32_f16 v53, v11, v5
	ds_read_b128 v[12:15], v81 offset:23808
	v_dot2c_f32_f16 v28, v11, v6
	v_dot2c_f32_f16 v29, v11, v7
	ds_read_b128 v[4:7], v80 offset:7424
	s_waitcnt lgkmcnt(2)
	v_dot2c_f32_f16 v79, v0, v84
	v_dot2c_f32_f16 v78, v0, v85
	v_dot2c_f32_f16 v52, v0, v86
	v_dot2c_f32_f16 v51, v0, v87
	v_dot2c_f32_f16 v75, v1, v84
	v_dot2c_f32_f16 v74, v1, v85
	v_dot2c_f32_f16 v41, v1, v86
	v_dot2c_f32_f16 v40, v1, v87
	v_dot2c_f32_f16 v71, v2, v84
	v_dot2c_f32_f16 v70, v2, v85
	v_dot2c_f32_f16 v39, v2, v86
	v_dot2c_f32_f16 v38, v2, v87
	v_dot2c_f32_f16 v67, v3, v84
	v_dot2c_f32_f16 v66, v3, v85
	v_dot2c_f32_f16 v33, v3, v86
	v_dot2c_f32_f16 v32, v3, v87
	s_waitcnt lgkmcnt(1)
	v_dot2c_f32_f16 v77, v0, v12
	v_dot2c_f32_f16 v76, v0, v13
	;; [unrolled: 1-line block ×16, first 2 shown]
	ds_read_b128 v[0:3], v80 offset:7680
	s_waitcnt lgkmcnt(1)
	v_dot2c_f32_f16 v63, v4, v84
	v_dot2c_f32_f16 v62, v4, v85
	;; [unrolled: 1-line block ×15, first 2 shown]
	ds_read_b128 v[8:11], v81 offset:24064
	v_dot2c_f32_f16 v30, v7, v87
	v_dot2c_f32_f16 v61, v4, v12
	;; [unrolled: 1-line block ×17, first 2 shown]
	ds_read_b128 v[4:7], v80 offset:7936
	ds_read_b128 v[84:87], v81 offset:24320
	v_cmp_gt_i32_e64 s0, s19, v83
	s_waitcnt lgkmcnt(2)
	v_dot2c_f32_f16 v52, v0, v10
	v_dot2c_f32_f16 v41, v1, v10
	;; [unrolled: 1-line block ×4, first 2 shown]
	s_and_b32 s1, s0, vcc_lo
	v_dot2c_f32_f16 v79, v0, v8
	v_dot2c_f32_f16 v78, v0, v9
	;; [unrolled: 1-line block ×6, first 2 shown]
	v_or_b32_e32 v12, 1, v83
	v_dot2c_f32_f16 v74, v1, v9
	v_dot2c_f32_f16 v40, v1, v11
	v_dot2c_f32_f16 v70, v2, v9
	v_dot2c_f32_f16 v38, v2, v11
	v_dot2c_f32_f16 v32, v3, v11
	s_waitcnt lgkmcnt(1)
	v_dot2c_f32_f16 v17, v4, v10
	v_dot2c_f32_f16 v23, v5, v10
	;; [unrolled: 1-line block ×4, first 2 shown]
	v_add_nc_u32_e32 v10, 64, v82
	s_waitcnt lgkmcnt(0)
	v_dot2c_f32_f16 v77, v0, v84
	v_dot2c_f32_f16 v76, v0, v85
	;; [unrolled: 1-line block ×14, first 2 shown]
	s_waitcnt vmcnt(15)
	v_cndmask_b32_e64 v8, 0, v89, s1
	v_cndmask_b32_e64 v0, 0, v88, s1
	v_cmp_gt_i32_e64 s1, s21, v10
	v_dot2c_f32_f16 v36, v2, v86
	v_dot2c_f32_f16 v37, v2, v87
	;; [unrolled: 1-line block ×3, first 2 shown]
	v_cvt_f32_f16_e32 v1, v0
	s_and_b32 s0, s0, s1
	v_cvt_f32_f16_sdwa v0, v0 dst_sel:DWORD dst_unused:UNUSED_PAD src0_sel:WORD_1
	s_waitcnt vmcnt(14)
	v_cndmask_b32_e64 v2, 0, v90, s0
	v_dot2c_f32_f16 v22, v5, v11
	v_dot2c_f32_f16 v24, v6, v11
	;; [unrolled: 1-line block ×3, first 2 shown]
	v_cndmask_b32_e64 v11, 0, v91, s0
	v_cmp_gt_i32_e64 s0, s19, v12
	v_dot2c_f32_f16 v66, v3, v9
	v_dot2c_f32_f16 v65, v3, v84
	v_dot2c_f32_f16 v64, v3, v85
	v_dot2c_f32_f16 v34, v3, v86
	v_dot2c_f32_f16 v35, v3, v87
	v_add_f32_e32 v1, v79, v1
	v_add_f32_e32 v0, v78, v0
	v_cvt_f32_f16_e32 v3, v2
	s_and_b32 s2, s0, vcc_lo
	v_cvt_f32_f16_sdwa v2, v2 dst_sel:DWORD dst_unused:UNUSED_PAD src0_sel:WORD_1
	v_dot2c_f32_f16 v62, v4, v9
	v_dot2c_f32_f16 v57, v5, v9
	;; [unrolled: 1-line block ×4, first 2 shown]
	v_max_f32_e32 v9, 0, v1
	v_max_f32_e32 v13, 0, v0
	v_add_f32_e32 v0, v77, v3
	s_waitcnt vmcnt(13)
	v_cndmask_b32_e64 v1, 0, v92, s2
	v_add_f32_e32 v2, v76, v2
	v_or_b32_e32 v76, 2, v83
	s_and_b32 s0, s0, s1
	v_max_f32_e32 v77, 0, v0
	v_cvt_f32_f16_e32 v0, v1
	v_cvt_f32_f16_sdwa v1, v1 dst_sel:DWORD dst_unused:UNUSED_PAD src0_sel:WORD_1
	v_dot2c_f32_f16 v61, v4, v84
	v_dot2c_f32_f16 v60, v4, v85
	;; [unrolled: 1-line block ×3, first 2 shown]
	s_waitcnt vmcnt(12)
	v_cndmask_b32_e64 v3, 0, v94, s0
	v_cndmask_b32_e64 v15, 0, v95, s0
	v_cmp_gt_i32_e64 s0, s19, v76
	v_add_f32_e32 v0, v75, v0
	v_add_f32_e32 v1, v74, v1
	v_dot2c_f32_f16 v18, v4, v87
	v_cvt_f32_f16_e32 v4, v3
	v_cndmask_b32_e64 v14, 0, v93, s2
	s_and_b32 s2, s0, vcc_lo
	v_max_f32_e32 v74, 0, v0
	v_max_f32_e32 v75, 0, v1
	v_cvt_f32_f16_sdwa v0, v3 dst_sel:DWORD dst_unused:UNUSED_PAD src0_sel:WORD_1
	s_waitcnt vmcnt(11)
	v_cndmask_b32_e64 v1, 0, v96, s2
	s_and_b32 s0, s0, s1
	v_or_b32_e32 v81, 3, v83
	v_add_f32_e32 v4, v73, v4
	v_max_f32_e32 v73, 0, v2
	s_waitcnt vmcnt(10)
	v_cndmask_b32_e64 v2, 0, v98, s0
	v_cndmask_b32_e64 v80, 0, v99, s0
	v_add_f32_e32 v0, v72, v0
	v_cvt_f32_f16_e32 v3, v1
	v_cmp_gt_i32_e64 s0, s19, v81
	v_max_f32_e32 v78, 0, v4
	v_cvt_f32_f16_sdwa v1, v1 dst_sel:DWORD dst_unused:UNUSED_PAD src0_sel:WORD_1
	v_cvt_f32_f16_e32 v4, v2
	v_cndmask_b32_e64 v79, 0, v97, s2
	v_max_f32_e32 v72, 0, v0
	v_add_f32_e32 v0, v71, v3
	s_and_b32 s2, s0, vcc_lo
	v_add_f32_e32 v1, v70, v1
	v_add_f32_e32 v3, v69, v4
	s_waitcnt vmcnt(8)
	v_cndmask_b32_e64 v4, 0, v100, s2
	v_max_f32_e32 v70, 0, v0
	s_and_b32 s0, s0, s1
	v_or_b32_e32 v0, 64, v83
	v_dot2c_f32_f16 v56, v5, v84
	v_dot2c_f32_f16 v48, v6, v84
	;; [unrolled: 1-line block ×3, first 2 shown]
	v_max_f32_e32 v71, 0, v1
	v_max_f32_e32 v84, 0, v3
	v_cvt_f32_f16_sdwa v1, v2 dst_sel:DWORD dst_unused:UNUSED_PAD src0_sel:WORD_1
	v_cvt_f32_f16_e32 v2, v4
	v_cvt_f32_f16_sdwa v3, v4 dst_sel:DWORD dst_unused:UNUSED_PAD src0_sel:WORD_1
	v_cndmask_b32_e64 v4, 0, v102, s0
	v_dot2c_f32_f16 v54, v5, v85
	v_dot2c_f32_f16 v47, v6, v85
	;; [unrolled: 1-line block ×3, first 2 shown]
	v_cndmask_b32_e64 v85, 0, v103, s0
	v_cmp_gt_i32_e64 s0, s19, v0
	v_dot2c_f32_f16 v21, v5, v86
	v_dot2c_f32_f16 v20, v5, v87
	v_cvt_f32_f16_e32 v5, v4
	v_cvt_f32_f16_sdwa v4, v4 dst_sel:DWORD dst_unused:UNUSED_PAD src0_sel:WORD_1
	v_add_f32_e32 v1, v68, v1
	v_add_f32_e32 v2, v67, v2
	v_cndmask_b32_e64 v69, 0, v101, s2
	s_and_b32 s2, s0, vcc_lo
	s_and_b32 s0, s0, s1
	v_dot2c_f32_f16 v28, v7, v86
	v_dot2c_f32_f16 v29, v7, v87
	s_waitcnt vmcnt(6)
	v_cndmask_b32_e64 v7, 0, v106, s0
	v_add_f32_e32 v64, v64, v4
	v_add_nc_u32_e32 v4, 0x41, v83
	v_add_f32_e32 v3, v66, v3
	v_max_f32_e32 v66, 0, v1
	v_max_f32_e32 v67, 0, v2
	v_add_f32_e32 v1, v65, v5
	v_cndmask_b32_e64 v2, 0, v104, s2
	v_dot2c_f32_f16 v27, v6, v86
	v_dot2c_f32_f16 v26, v6, v87
	v_cndmask_b32_e64 v5, 0, v107, s0
	v_cvt_f32_f16_e32 v6, v7
	v_cmp_gt_i32_e64 s0, s19, v4
	v_cvt_f32_f16_sdwa v7, v7 dst_sel:DWORD dst_unused:UNUSED_PAD src0_sel:WORD_1
	v_max_f32_e32 v65, 0, v1
	v_cvt_f32_f16_e32 v1, v2
	v_max_f32_e32 v68, 0, v3
	v_cndmask_b32_e64 v3, 0, v105, s2
	s_and_b32 s2, s0, vcc_lo
	v_add_f32_e32 v7, v60, v7
	v_add_nc_u32_e32 v60, 0x42, v83
	v_add_f32_e32 v1, v63, v1
	s_and_b32 s0, s0, s1
	s_waitcnt vmcnt(5)
	v_cndmask_b32_e64 v63, 0, v108, s2
	v_cvt_f32_f16_sdwa v2, v2 dst_sel:DWORD dst_unused:UNUSED_PAD src0_sel:WORD_1
	v_add_f32_e32 v6, v61, v6
	v_max_f32_e32 v61, 0, v64
	s_waitcnt vmcnt(4)
	v_cndmask_b32_e64 v64, 0, v111, s0
	v_cndmask_b32_e64 v86, 0, v110, s0
	v_cmp_gt_i32_e64 s0, s19, v60
	v_cvt_f32_f16_e32 v87, v63
	v_add_f32_e32 v2, v62, v2
	v_cndmask_b32_e64 v62, 0, v109, s2
	v_cvt_f32_f16_e32 v88, v86
	s_and_b32 s2, s0, vcc_lo
	v_max_f32_e32 v89, 0, v7
	v_add_f32_e32 v7, v58, v87
	v_cvt_f32_f16_sdwa v58, v86 dst_sel:DWORD dst_unused:UNUSED_PAD src0_sel:WORD_1
	s_and_b32 s0, s0, s1
	s_waitcnt vmcnt(3)
	v_cndmask_b32_e64 v86, 0, v112, s2
	v_add_f32_e32 v56, v56, v88
	v_max_f32_e32 v87, 0, v7
	v_add_f32_e32 v7, v54, v58
	v_cvt_f16_f32_e32 v9, v9
	v_cvt_f32_f16_e32 v54, v86
	v_cvt_f32_f16_sdwa v58, v86 dst_sel:DWORD dst_unused:UNUSED_PAD src0_sel:WORD_1
	v_add_nc_u32_e32 v86, 0x43, v83
	s_waitcnt vmcnt(2)
	v_cndmask_b32_e64 v88, 0, v115, s0
	v_cndmask_b32_e64 v90, 0, v114, s0
	v_max_f32_e32 v91, 0, v7
	v_add_f32_e32 v7, v50, v54
	v_cmp_gt_i32_e64 s0, s19, v86
	v_add_f32_e32 v49, v49, v58
	v_cvt_f32_f16_e32 v50, v90
	v_cvt_f32_f16_sdwa v54, v90 dst_sel:DWORD dst_unused:UNUSED_PAD src0_sel:WORD_1
	v_max_f32_e32 v92, 0, v7
	s_and_b32 vcc_lo, s0, vcc_lo
	v_cvt_f16_f32_e32 v13, v13
	v_add_f32_e32 v7, v48, v50
	v_add_f32_e32 v47, v47, v54
	v_cvt_f32_f16_sdwa v63, v63 dst_sel:DWORD dst_unused:UNUSED_PAD src0_sel:WORD_1
	s_lshl_b32 s6, s36, 1
	s_waitcnt vmcnt(0)
	v_cndmask_b32_e32 v90, 0, v116, vcc_lo
	v_cndmask_b32_e32 v58, 0, v117, vcc_lo
	s_and_b32 vcc_lo, s0, s1
	v_max_f32_e32 v93, 0, v7
	v_cndmask_b32_e32 v54, 0, v118, vcc_lo
	v_cvt_f32_f16_e32 v48, v90
	v_cvt_f32_f16_sdwa v90, v90 dst_sel:DWORD dst_unused:UNUSED_PAD src0_sel:WORD_1
	v_cndmask_b32_e32 v50, 0, v119, vcc_lo
	v_cmp_gt_i32_e32 vcc_lo, s16, v82
	v_cmp_gt_i32_e64 s1, s11, v83
	v_add_f32_e32 v7, v46, v48
	v_cvt_f32_f16_e32 v46, v54
	v_add_f32_e32 v48, v59, v90
	v_cvt_f32_f16_sdwa v59, v8 dst_sel:DWORD dst_unused:UNUSED_PAD src0_sel:WORD_1
	v_cvt_f32_f16_e32 v8, v8
	v_max_f32_e32 v90, 0, v7
	v_add_f32_e32 v7, v55, v46
	v_max_f32_e32 v46, 0, v48
	v_add_f32_e32 v48, v51, v59
	v_add_f32_e32 v8, v52, v8
	v_cvt_f32_f16_sdwa v51, v54 dst_sel:DWORD dst_unused:UNUSED_PAD src0_sel:WORD_1
	v_max_f32_e32 v52, 0, v7
	v_mul_lo_u32 v7, v83, s34
	v_max_f32_e32 v48, 0, v48
	v_max_f32_e32 v8, 0, v8
	v_add_f32_e32 v51, v53, v51
	s_and_b32 s0, s1, vcc_lo
	v_add_f32_e32 v57, v57, v63
	v_cvt_f16_f32_e32 v48, v48
	v_cvt_f16_f32_e32 v53, v8
	v_mad_u64_u32 v[7:8], null, v82, s35, v[7:8]
	v_pack_b32_f16 v8, v9, v13
	v_cvt_f32_f16_sdwa v13, v11 dst_sel:DWORD dst_unused:UNUSED_PAD src0_sel:WORD_1
	v_cvt_f32_f16_e32 v11, v11
	v_cndmask_b32_e64 v63, 0, v113, s2
	s_lshl_b32 s2, s35, 6
	v_pack_b32_f16 v9, v53, v48
	v_add_f32_e32 v13, v44, v13
	v_add_f32_e32 v11, v45, v11
	v_cndmask_b32_e64 v44, 0x80000000, 0, s0
	v_cmp_gt_i32_e64 s0, s16, v10
	v_cvt_f16_f32_e32 v10, v77
	v_max_f32_e32 v13, 0, v13
	v_max_f32_e32 v11, 0, v11
	v_cvt_f16_f32_e32 v48, v73
	s_and_b32 s1, s1, s0
	v_add_nc_u32_e32 v45, s2, v7
	v_cvt_f16_f32_e32 v13, v13
	v_cvt_f16_f32_e32 v11, v11
	v_cndmask_b32_e64 v53, 0x80000000, 0, s1
	v_lshl_add_u32 v44, v7, 1, v44
	v_pack_b32_f16 v10, v10, v48
	v_cvt_f32_f16_sdwa v48, v15 dst_sel:DWORD dst_unused:UNUSED_PAD src0_sel:WORD_1
	v_cvt_f32_f16_e32 v15, v15
	v_pack_b32_f16 v11, v11, v13
	v_lshl_add_u32 v13, v45, 1, v53
	buffer_store_dwordx2 v[8:9], v44, s[4:7], 0 offen
	buffer_store_dwordx2 v[10:11], v13, s[4:7], 0 offen
	v_add_f32_e32 v43, v43, v48
	v_add_f32_e32 v8, v42, v15
	v_cmp_gt_i32_e64 s1, s11, v12
	v_cvt_f32_f16_sdwa v12, v14 dst_sel:DWORD dst_unused:UNUSED_PAD src0_sel:WORD_1
	v_cvt_f32_f16_e32 v13, v14
	v_max_f32_e32 v9, 0, v43
	v_max_f32_e32 v8, 0, v8
	s_and_b32 s3, s1, s0
	v_add_nc_u32_e32 v15, s34, v45
	v_cvt_f16_f32_e32 v10, v78
	v_cvt_f16_f32_e32 v11, v72
	v_cvt_f16_f32_e32 v9, v9
	v_cvt_f16_f32_e32 v14, v8
	v_cndmask_b32_e64 v42, 0x80000000, 0, s3
	v_add_f32_e32 v12, v40, v12
	v_add_f32_e32 v13, v41, v13
	v_pack_b32_f16 v8, v10, v11
	v_pack_b32_f16 v9, v14, v9
	v_lshl_add_u32 v14, v15, 1, v42
	v_max_f32_e32 v10, 0, v12
	v_max_f32_e32 v11, 0, v13
	v_cvt_f16_f32_e32 v12, v74
	v_cvt_f16_f32_e32 v13, v75
	v_cvt_f32_f16_sdwa v41, v79 dst_sel:DWORD dst_unused:UNUSED_PAD src0_sel:WORD_1
	v_cvt_f32_f16_e32 v42, v79
	v_cvt_f16_f32_e32 v40, v10
	s_and_b32 s1, s1, vcc_lo
	v_pack_b32_f16 v10, v12, v13
	v_add_f32_e32 v12, v38, v41
	v_add_f32_e32 v13, v39, v42
	v_cndmask_b32_e64 v43, 0x80000000, 0, s1
	v_cmp_gt_i32_e64 s1, s11, v76
	v_add_nc_u32_e32 v7, s34, v7
	v_cvt_f16_f32_e32 v11, v11
	v_max_f32_e32 v12, 0, v12
	v_max_f32_e32 v13, 0, v13
	s_and_b32 s3, s1, vcc_lo
	v_lshl_add_u32 v38, v7, 1, v43
	v_pack_b32_f16 v11, v11, v40
	v_cvt_f16_f32_e32 v39, v70
	v_cvt_f16_f32_e32 v40, v71
	v_cvt_f32_f16_sdwa v43, v80 dst_sel:DWORD dst_unused:UNUSED_PAD src0_sel:WORD_1
	v_add_nc_u32_e32 v7, s34, v7
	v_cvt_f16_f32_e32 v41, v12
	v_cvt_f16_f32_e32 v13, v13
	v_cndmask_b32_e64 v42, 0x80000000, 0, s3
	v_pack_b32_f16 v12, v39, v40
	v_cvt_f32_f16_e32 v39, v80
	v_add_f32_e32 v37, v37, v43
	v_pack_b32_f16 v13, v13, v41
	v_lshl_add_u32 v7, v7, 1, v42
	buffer_store_dwordx2 v[8:9], v14, s[4:7], 0 offen
	v_add_f32_e32 v8, v36, v39
	buffer_store_dwordx2 v[10:11], v38, s[4:7], 0 offen
	buffer_store_dwordx2 v[12:13], v7, s[4:7], 0 offen
	v_max_f32_e32 v7, 0, v37
	v_cvt_f16_f32_e32 v9, v84
	v_max_f32_e32 v8, 0, v8
	v_cvt_f16_f32_e32 v10, v66
	v_cvt_f32_f16_e32 v12, v85
	v_cvt_f16_f32_e32 v11, v7
	v_cvt_f32_f16_sdwa v7, v85 dst_sel:DWORD dst_unused:UNUSED_PAD src0_sel:WORD_1
	v_add_nc_u32_e32 v13, s34, v15
	v_cvt_f16_f32_e32 v8, v8
	s_and_b32 s1, s1, s0
	v_max_f32_e32 v51, 0, v51
	v_add_f32_e32 v15, v35, v7
	v_pack_b32_f16 v7, v9, v10
	v_add_f32_e32 v9, v34, v12
	v_pack_b32_f16 v8, v8, v11
	v_cvt_f16_f32_e32 v11, v65
	v_cvt_f16_f32_e32 v12, v61
	v_cvt_f32_f16_sdwa v34, v69 dst_sel:DWORD dst_unused:UNUSED_PAD src0_sel:WORD_1
	v_max_f32_e32 v9, 0, v9
	v_cvt_f32_f16_e32 v35, v69
	v_cndmask_b32_e64 v14, 0x80000000, 0, s1
	v_max_f32_e32 v10, 0, v15
	v_cmp_gt_i32_e64 s1, s11, v81
	v_cvt_f16_f32_e32 v36, v9
	v_pack_b32_f16 v9, v11, v12
	v_add_f32_e32 v11, v32, v34
	v_add_f32_e32 v12, v33, v35
	v_lshl_add_u32 v14, v13, 1, v14
	v_add_nc_u32_e32 v15, s34, v13
	v_cvt_f16_f32_e32 v10, v10
	v_max_f32_e32 v11, 0, v11
	v_max_f32_e32 v12, 0, v12
	v_cvt_f16_f32_e32 v34, v67
	v_cvt_f16_f32_e32 v35, v68
	s_and_b32 s3, s1, s0
	s_and_b32 s1, s1, vcc_lo
	v_pack_b32_f16 v10, v36, v10
	v_cndmask_b32_e64 v32, 0x80000000, 0, s3
	v_subrev_nc_u32_e32 v33, s2, v15
	v_cvt_f16_f32_e32 v36, v11
	v_cvt_f16_f32_e32 v12, v12
	v_cndmask_b32_e64 v37, 0x80000000, 0, s1
	v_pack_b32_f16 v11, v34, v35
	v_cvt_f32_f16_e32 v34, v58
	buffer_store_dwordx2 v[7:8], v14, s[4:7], 0 offen
	v_cvt_f32_f16_sdwa v7, v58 dst_sel:DWORD dst_unused:UNUSED_PAD src0_sel:WORD_1
	v_lshl_add_u32 v32, v15, 1, v32
	v_pack_b32_f16 v12, v12, v36
	v_lshl_add_u32 v35, v33, 1, v37
	v_add_f32_e32 v8, v31, v34
	v_add_f32_e32 v7, v30, v7
	v_cmp_gt_i32_e64 s1, s11, v86
	buffer_store_dwordx2 v[9:10], v32, s[4:7], 0 offen
	buffer_store_dwordx2 v[11:12], v35, s[4:7], 0 offen
	v_max_f32_e32 v8, 0, v8
	v_max_f32_e32 v7, 0, v7
	v_cvt_f32_f16_e32 v12, v50
	v_cvt_f32_f16_sdwa v14, v50 dst_sel:DWORD dst_unused:UNUSED_PAD src0_sel:WORD_1
	s_lshl_b32 s3, s34, 6
	s_and_b32 s8, s1, vcc_lo
	v_add_nc_u32_e32 v9, s3, v33
	v_cvt_f16_f32_e32 v10, v90
	v_cvt_f16_f32_e32 v11, v46
	v_cvt_f16_f32_e32 v8, v8
	v_cvt_f16_f32_e32 v30, v7
	v_cndmask_b32_e64 v31, 0x80000000, 0, s8
	v_add_f32_e32 v12, v28, v12
	v_add_f32_e32 v14, v29, v14
	v_pack_b32_f16 v7, v10, v11
	v_pack_b32_f16 v8, v8, v30
	v_lshl_add_u32 v28, v9, 1, v31
	v_max_f32_e32 v9, 0, v12
	v_max_f32_e32 v10, 0, v14
	v_cvt_f16_f32_e32 v12, v52
	v_cvt_f16_f32_e32 v14, v51
	v_cvt_f32_f16_sdwa v29, v88 dst_sel:DWORD dst_unused:UNUSED_PAD src0_sel:WORD_1
	v_cvt_f32_f16_e32 v30, v88
	s_and_b32 s1, s1, s0
	v_max_f32_e32 v47, 0, v47
	v_add_nc_u32_e32 v11, s3, v15
	v_cvt_f16_f32_e32 v15, v9
	v_cvt_f16_f32_e32 v10, v10
	v_cndmask_b32_e64 v31, 0x80000000, 0, s1
	v_pack_b32_f16 v9, v12, v14
	v_add_f32_e32 v12, v26, v29
	v_add_f32_e32 v14, v27, v30
	v_cmp_ge_i32_e64 s1, s11, v86
	v_pack_b32_f16 v10, v15, v10
	v_lshl_add_u32 v15, v11, 1, v31
	v_max_f32_e32 v11, 0, v12
	v_max_f32_e32 v12, 0, v14
	v_cvt_f16_f32_e32 v14, v93
	v_cvt_f16_f32_e32 v26, v47
	s_and_b32 s1, s1, s0
	v_cvt_f16_f32_e32 v27, v11
	v_add_nc_u32_e32 v13, s3, v13
	v_cvt_f16_f32_e32 v12, v12
	v_pack_b32_f16 v11, v14, v26
	v_cvt_f32_f16_sdwa v14, v63 dst_sel:DWORD dst_unused:UNUSED_PAD src0_sel:WORD_1
	v_cndmask_b32_e64 v29, 0x80000000, 0, s1
	v_max_f32_e32 v49, 0, v49
	buffer_store_dwordx2 v[7:8], v28, s[4:7], 0 offen
	v_pack_b32_f16 v12, v12, v27
	v_add_f32_e32 v7, v24, v14
	v_lshl_add_u32 v27, v13, 1, v29
	v_cmp_gt_i32_e64 s1, s11, v60
	v_cvt_f32_f16_e32 v26, v63
	buffer_store_dwordx2 v[9:10], v15, s[4:7], 0 offen
	buffer_store_dwordx2 v[11:12], v27, s[4:7], 0 offen
	v_subrev_nc_u32_e32 v9, s2, v13
	v_max_f32_e32 v7, 0, v7
	v_cvt_f16_f32_e32 v10, v92
	v_cvt_f16_f32_e32 v11, v49
	v_cvt_f32_f16_e32 v13, v62
	v_cvt_f32_f16_sdwa v14, v62 dst_sel:DWORD dst_unused:UNUSED_PAD src0_sel:WORD_1
	s_and_b32 s1, s1, vcc_lo
	v_add_f32_e32 v8, v25, v26
	v_cvt_f16_f32_e32 v12, v7
	v_cndmask_b32_e64 v15, 0x80000000, 0, s1
	v_pack_b32_f16 v7, v10, v11
	v_add_f32_e32 v10, v22, v14
	v_add_f32_e32 v11, v23, v13
	v_max_f32_e32 v8, 0, v8
	v_lshl_add_u32 v13, v9, 1, v15
	v_cvt_f32_f16_e32 v14, v64
	v_max_f32_e32 v10, 0, v10
	v_max_f32_e32 v11, 0, v11
	v_cvt_f32_f16_sdwa v15, v64 dst_sel:DWORD dst_unused:UNUSED_PAD src0_sel:WORD_1
	v_max_f32_e32 v57, 0, v57
	v_cvt_f16_f32_e32 v8, v8
	v_cvt_f16_f32_e32 v10, v10
	;; [unrolled: 1-line block ×3, first 2 shown]
	v_add_f32_e32 v14, v21, v14
	v_add_f32_e32 v15, v20, v15
	v_cmp_ge_i32_e64 s1, s11, v60
	v_pack_b32_f16 v8, v8, v12
	v_subrev_nc_u32_e32 v12, s34, v9
	v_cvt_f16_f32_e32 v9, v87
	v_cvt_f16_f32_e32 v22, v57
	v_pack_b32_f16 v10, v11, v10
	v_max_f32_e32 v11, 0, v14
	v_max_f32_e32 v14, 0, v15
	s_and_b32 s1, s1, vcc_lo
	v_max_f32_e32 v56, 0, v56
	v_pack_b32_f16 v9, v9, v22
	v_cndmask_b32_e64 v15, 0x80000000, 0, s1
	v_cvt_f16_f32_e32 v14, v14
	v_cvt_f16_f32_e32 v22, v11
	v_max_f32_e32 v6, 0, v6
	v_cvt_f16_f32_e32 v20, v56
	v_cvt_f16_f32_e32 v21, v91
	v_lshl_add_u32 v15, v12, 1, v15
	v_add_nc_u32_e32 v23, s2, v12
	v_pack_b32_f16 v12, v22, v14
	v_cvt_f32_f16_e32 v14, v5
	v_cvt_f32_f16_sdwa v5, v5 dst_sel:DWORD dst_unused:UNUSED_PAD src0_sel:WORD_1
	v_cmp_gt_i32_e64 s1, s11, v4
	v_pack_b32_f16 v11, v20, v21
	v_cvt_f16_f32_e32 v6, v6
	v_cvt_f16_f32_e32 v21, v89
	v_add_f32_e32 v18, v18, v5
	v_add_f32_e32 v14, v19, v14
	s_and_b32 s1, s1, s0
	v_max_f32_e32 v1, 0, v1
	v_pack_b32_f16 v5, v6, v21
	v_max_f32_e32 v6, 0, v18
	v_max_f32_e32 v14, 0, v14
	v_cvt_f32_f16_sdwa v18, v3 dst_sel:DWORD dst_unused:UNUSED_PAD src0_sel:WORD_1
	v_cvt_f32_f16_e32 v3, v3
	v_cndmask_b32_e64 v20, 0x80000000, 0, s1
	v_cmp_ge_i32_e64 s1, s11, v4
	v_cvt_f16_f32_e32 v4, v6
	v_cvt_f16_f32_e32 v6, v14
	v_add_f32_e32 v14, v16, v18
	v_add_f32_e32 v3, v17, v3
	s_and_b32 s0, s1, s0
	v_max_f32_e32 v2, 0, v2
	v_cndmask_b32_e64 v16, 0x80000000, 0, s0
	v_cmp_gt_i32_e64 s0, s11, v0
	v_lshl_add_u32 v19, v23, 1, v20
	v_subrev_nc_u32_e32 v20, s34, v23
	v_max_f32_e32 v14, 0, v14
	v_max_f32_e32 v3, 0, v3
	s_and_b32 s0, s0, vcc_lo
	v_cvt_f16_f32_e32 v0, v1
	v_subrev_nc_u32_e32 v17, s2, v20
	v_cvt_f16_f32_e32 v1, v2
	v_cvt_f16_f32_e32 v2, v14
	;; [unrolled: 1-line block ×3, first 2 shown]
	v_cndmask_b32_e64 v14, 0x80000000, 0, s0
	v_pack_b32_f16 v6, v6, v4
	v_lshl_add_u32 v4, v20, 1, v16
	v_pack_b32_f16 v0, v0, v1
	v_pack_b32_f16 v1, v3, v2
	v_lshl_add_u32 v2, v17, 1, v14
	buffer_store_dwordx2 v[7:8], v13, s[4:7], 0 offen
	buffer_store_dwordx2 v[9:10], v15, s[4:7], 0 offen
	;; [unrolled: 1-line block ×5, first 2 shown]
	s_endpgm
	.section	.rodata,"a",@progbits
	.p2align	6, 0x0
	.amdhsa_kernel _ZN2ck16tensor_operation6device12_GLOBAL__N_137kernel_grouped_conv_fwd_dl_multiple_dINS_32GridwiseGemmDlMultipleD_km_kn_mnILi256EDF16_fNS_5TupleIJDF16_EEEDF16_NS0_12element_wise11PassThroughES8_NS7_7AddReluELNS_25InMemoryDataOperationEnumE0ENS_16TensorDescriptorINS5_IJNS_5EmbedINS5_IJiiiEEESD_Lb0EEENS_11PassThroughIiEENS_3PadIiiiLb0EEESG_SG_NSC_INS5_IJiiEEESJ_Lb0EEESG_NS_23Merge_v2_magic_divisionISJ_EESM_NS_8RightPadIiiLb0EEESO_NS_7UnMergeISJ_Lb0EEESG_EEENS5_IJNS_8SequenceIJLi0EEEENSS_IJLi1EEEENSS_IJLi2EEEENSS_IJLi3EEEENSS_IJLi4EEEENSS_IJLi5EEEENSS_IJLi6EEEENSS_IJLi7ELi9EEEENSS_IJLi8ELi10EEEENSS_IJLi11EEEENSS_IJLi12EEEENSS_IJLi14EEEENSS_IJLi13EEEEEEENS5_IJNSS_IJLi1ELi2ELi3EEEESX_SY_SZ_NSS_IJLi7EEEENSS_IJLi8ELi9EEEENSS_IJLi10EEEES12_S13_S15_S14_NSS_IJLi15ELi16EEEENSS_IJLi17EEEEEEENSS_IJLi15ELi17ELi16EEEElEENSB_INS5_IJSQ_SO_SO_SQ_SG_EEENS5_IJST_SU_SV_SX_SW_EEENS5_IJNSS_IJLi1ELi2EEEESW_SX_NSS_IJLi5ELi6EEEES18_EEENSS_IJLi5ELi7ELi6EEEElEENSB_INS5_IJSK_SO_SO_EEENS5_IJST_SU_SV_EEENS5_IJS1I_SW_SX_EEENSS_IJLi3ELi4EEEElEELi128ELi128ELi16ELi2ELi4ELi4ELi1ENSS_IJLi8ELi2EEEES1S_NSS_IJLi8ELi1ELi1ELi2EEEENSS_IJLi2ELi1ELi128ELi1EEEENSS_IJLi1ELi2ELi0ELi3EEEES1V_NSS_IJLi4ELi1ELi1ELi2EEEES1V_NSS_IJLi1ELi1ELi1ELi2EEEES1T_S1U_S1V_S1V_S1W_S1V_S1X_NSS_IJLi0ELi1ELi2ELi3ELi4ELi5EEEELi5ELi4EEEDF16_NS5_IJPKDF16_EEEDF16_S8_S8_S9_NSB_INS5_IJSE_SG_SI_SG_SG_SK_SG_SM_SM_SO_SO_SQ_SG_SG_NSP_INS5_IJiNS_17integral_constantIiLi128EEEEEELb0EEENSF_INS23_IiLi2EEEEEEEENS5_IJST_SU_SV_SW_SX_SY_SZ_S10_S11_S12_S13_S14_S15_NSS_IJLi15EEEES1C_NSS_IJLi16EEEEEEENS5_IJS17_SX_SY_SZ_S18_S19_S1A_S12_S13_S15_S14_S1B_S1C_NSS_IJLi18EEEENSS_IJLi19ELi20EEEENSS_IJLi21EEEEEEENSS_IJLi18ELi19ELi20ELi21EEEElEENSB_INS5_IJSQ_SO_SO_SQ_SG_SG_S26_S28_EEENS5_IJST_SU_SV_SX_SW_SY_S18_SZ_EEENS5_IJS1I_SW_SX_S1J_S18_NSS_IJLi8EEEENSS_IJLi9ELi10EEEES12_EEENSS_IJLi8ELi9ELi10ELi11EEEElEENS5_IJNSB_INS5_IJSK_SO_SO_NSP_INS5_IJiS27_NS23_IiLi64EEEEEELb0EEES2S_EEENS5_IJST_SU_SV_SW_SX_EEENS5_IJS1I_SW_SX_NSS_IJLi5ELi6ELi7EEEENSS_IJLi8ELi9ELi10EEEEEEENSS_IJLi5ELi6ELi7ELi8ELi9ELi10EEEElEEEEES2Z_NS_31BlockToCTileMap_M00_N00_M01_N01ILi128ELi128ES1R_Lb0EEENS1_30ComputePtrOffsetOfStridedBatchILi1ELi1ELi1EvEELb1ELb0EEEvPKT0_S37_T1_PT2_T3_T4_T5_iT6_T7_T8_T9_T10_T11_
		.amdhsa_group_segment_fixed_size 32768
		.amdhsa_private_segment_fixed_size 0
		.amdhsa_kernarg_size 904
		.amdhsa_user_sgpr_count 6
		.amdhsa_user_sgpr_private_segment_buffer 1
		.amdhsa_user_sgpr_dispatch_ptr 0
		.amdhsa_user_sgpr_queue_ptr 0
		.amdhsa_user_sgpr_kernarg_segment_ptr 1
		.amdhsa_user_sgpr_dispatch_id 0
		.amdhsa_user_sgpr_flat_scratch_init 0
		.amdhsa_user_sgpr_private_segment_size 0
		.amdhsa_wavefront_size32 1
		.amdhsa_uses_dynamic_stack 0
		.amdhsa_system_sgpr_private_segment_wavefront_offset 0
		.amdhsa_system_sgpr_workgroup_id_x 1
		.amdhsa_system_sgpr_workgroup_id_y 0
		.amdhsa_system_sgpr_workgroup_id_z 0
		.amdhsa_system_sgpr_workgroup_info 0
		.amdhsa_system_vgpr_workitem_id 0
		.amdhsa_next_free_vgpr 125
		.amdhsa_next_free_sgpr 60
		.amdhsa_reserve_vcc 1
		.amdhsa_reserve_flat_scratch 0
		.amdhsa_float_round_mode_32 0
		.amdhsa_float_round_mode_16_64 0
		.amdhsa_float_denorm_mode_32 3
		.amdhsa_float_denorm_mode_16_64 3
		.amdhsa_dx10_clamp 1
		.amdhsa_ieee_mode 1
		.amdhsa_fp16_overflow 0
		.amdhsa_workgroup_processor_mode 1
		.amdhsa_memory_ordered 1
		.amdhsa_forward_progress 1
		.amdhsa_shared_vgpr_count 0
		.amdhsa_exception_fp_ieee_invalid_op 0
		.amdhsa_exception_fp_denorm_src 0
		.amdhsa_exception_fp_ieee_div_zero 0
		.amdhsa_exception_fp_ieee_overflow 0
		.amdhsa_exception_fp_ieee_underflow 0
		.amdhsa_exception_fp_ieee_inexact 0
		.amdhsa_exception_int_div_zero 0
	.end_amdhsa_kernel
	.section	.text._ZN2ck16tensor_operation6device12_GLOBAL__N_137kernel_grouped_conv_fwd_dl_multiple_dINS_32GridwiseGemmDlMultipleD_km_kn_mnILi256EDF16_fNS_5TupleIJDF16_EEEDF16_NS0_12element_wise11PassThroughES8_NS7_7AddReluELNS_25InMemoryDataOperationEnumE0ENS_16TensorDescriptorINS5_IJNS_5EmbedINS5_IJiiiEEESD_Lb0EEENS_11PassThroughIiEENS_3PadIiiiLb0EEESG_SG_NSC_INS5_IJiiEEESJ_Lb0EEESG_NS_23Merge_v2_magic_divisionISJ_EESM_NS_8RightPadIiiLb0EEESO_NS_7UnMergeISJ_Lb0EEESG_EEENS5_IJNS_8SequenceIJLi0EEEENSS_IJLi1EEEENSS_IJLi2EEEENSS_IJLi3EEEENSS_IJLi4EEEENSS_IJLi5EEEENSS_IJLi6EEEENSS_IJLi7ELi9EEEENSS_IJLi8ELi10EEEENSS_IJLi11EEEENSS_IJLi12EEEENSS_IJLi14EEEENSS_IJLi13EEEEEEENS5_IJNSS_IJLi1ELi2ELi3EEEESX_SY_SZ_NSS_IJLi7EEEENSS_IJLi8ELi9EEEENSS_IJLi10EEEES12_S13_S15_S14_NSS_IJLi15ELi16EEEENSS_IJLi17EEEEEEENSS_IJLi15ELi17ELi16EEEElEENSB_INS5_IJSQ_SO_SO_SQ_SG_EEENS5_IJST_SU_SV_SX_SW_EEENS5_IJNSS_IJLi1ELi2EEEESW_SX_NSS_IJLi5ELi6EEEES18_EEENSS_IJLi5ELi7ELi6EEEElEENSB_INS5_IJSK_SO_SO_EEENS5_IJST_SU_SV_EEENS5_IJS1I_SW_SX_EEENSS_IJLi3ELi4EEEElEELi128ELi128ELi16ELi2ELi4ELi4ELi1ENSS_IJLi8ELi2EEEES1S_NSS_IJLi8ELi1ELi1ELi2EEEENSS_IJLi2ELi1ELi128ELi1EEEENSS_IJLi1ELi2ELi0ELi3EEEES1V_NSS_IJLi4ELi1ELi1ELi2EEEES1V_NSS_IJLi1ELi1ELi1ELi2EEEES1T_S1U_S1V_S1V_S1W_S1V_S1X_NSS_IJLi0ELi1ELi2ELi3ELi4ELi5EEEELi5ELi4EEEDF16_NS5_IJPKDF16_EEEDF16_S8_S8_S9_NSB_INS5_IJSE_SG_SI_SG_SG_SK_SG_SM_SM_SO_SO_SQ_SG_SG_NSP_INS5_IJiNS_17integral_constantIiLi128EEEEEELb0EEENSF_INS23_IiLi2EEEEEEEENS5_IJST_SU_SV_SW_SX_SY_SZ_S10_S11_S12_S13_S14_S15_NSS_IJLi15EEEES1C_NSS_IJLi16EEEEEEENS5_IJS17_SX_SY_SZ_S18_S19_S1A_S12_S13_S15_S14_S1B_S1C_NSS_IJLi18EEEENSS_IJLi19ELi20EEEENSS_IJLi21EEEEEEENSS_IJLi18ELi19ELi20ELi21EEEElEENSB_INS5_IJSQ_SO_SO_SQ_SG_SG_S26_S28_EEENS5_IJST_SU_SV_SX_SW_SY_S18_SZ_EEENS5_IJS1I_SW_SX_S1J_S18_NSS_IJLi8EEEENSS_IJLi9ELi10EEEES12_EEENSS_IJLi8ELi9ELi10ELi11EEEElEENS5_IJNSB_INS5_IJSK_SO_SO_NSP_INS5_IJiS27_NS23_IiLi64EEEEEELb0EEES2S_EEENS5_IJST_SU_SV_SW_SX_EEENS5_IJS1I_SW_SX_NSS_IJLi5ELi6ELi7EEEENSS_IJLi8ELi9ELi10EEEEEEENSS_IJLi5ELi6ELi7ELi8ELi9ELi10EEEElEEEEES2Z_NS_31BlockToCTileMap_M00_N00_M01_N01ILi128ELi128ES1R_Lb0EEENS1_30ComputePtrOffsetOfStridedBatchILi1ELi1ELi1EvEELb1ELb0EEEvPKT0_S37_T1_PT2_T3_T4_T5_iT6_T7_T8_T9_T10_T11_,"axG",@progbits,_ZN2ck16tensor_operation6device12_GLOBAL__N_137kernel_grouped_conv_fwd_dl_multiple_dINS_32GridwiseGemmDlMultipleD_km_kn_mnILi256EDF16_fNS_5TupleIJDF16_EEEDF16_NS0_12element_wise11PassThroughES8_NS7_7AddReluELNS_25InMemoryDataOperationEnumE0ENS_16TensorDescriptorINS5_IJNS_5EmbedINS5_IJiiiEEESD_Lb0EEENS_11PassThroughIiEENS_3PadIiiiLb0EEESG_SG_NSC_INS5_IJiiEEESJ_Lb0EEESG_NS_23Merge_v2_magic_divisionISJ_EESM_NS_8RightPadIiiLb0EEESO_NS_7UnMergeISJ_Lb0EEESG_EEENS5_IJNS_8SequenceIJLi0EEEENSS_IJLi1EEEENSS_IJLi2EEEENSS_IJLi3EEEENSS_IJLi4EEEENSS_IJLi5EEEENSS_IJLi6EEEENSS_IJLi7ELi9EEEENSS_IJLi8ELi10EEEENSS_IJLi11EEEENSS_IJLi12EEEENSS_IJLi14EEEENSS_IJLi13EEEEEEENS5_IJNSS_IJLi1ELi2ELi3EEEESX_SY_SZ_NSS_IJLi7EEEENSS_IJLi8ELi9EEEENSS_IJLi10EEEES12_S13_S15_S14_NSS_IJLi15ELi16EEEENSS_IJLi17EEEEEEENSS_IJLi15ELi17ELi16EEEElEENSB_INS5_IJSQ_SO_SO_SQ_SG_EEENS5_IJST_SU_SV_SX_SW_EEENS5_IJNSS_IJLi1ELi2EEEESW_SX_NSS_IJLi5ELi6EEEES18_EEENSS_IJLi5ELi7ELi6EEEElEENSB_INS5_IJSK_SO_SO_EEENS5_IJST_SU_SV_EEENS5_IJS1I_SW_SX_EEENSS_IJLi3ELi4EEEElEELi128ELi128ELi16ELi2ELi4ELi4ELi1ENSS_IJLi8ELi2EEEES1S_NSS_IJLi8ELi1ELi1ELi2EEEENSS_IJLi2ELi1ELi128ELi1EEEENSS_IJLi1ELi2ELi0ELi3EEEES1V_NSS_IJLi4ELi1ELi1ELi2EEEES1V_NSS_IJLi1ELi1ELi1ELi2EEEES1T_S1U_S1V_S1V_S1W_S1V_S1X_NSS_IJLi0ELi1ELi2ELi3ELi4ELi5EEEELi5ELi4EEEDF16_NS5_IJPKDF16_EEEDF16_S8_S8_S9_NSB_INS5_IJSE_SG_SI_SG_SG_SK_SG_SM_SM_SO_SO_SQ_SG_SG_NSP_INS5_IJiNS_17integral_constantIiLi128EEEEEELb0EEENSF_INS23_IiLi2EEEEEEEENS5_IJST_SU_SV_SW_SX_SY_SZ_S10_S11_S12_S13_S14_S15_NSS_IJLi15EEEES1C_NSS_IJLi16EEEEEEENS5_IJS17_SX_SY_SZ_S18_S19_S1A_S12_S13_S15_S14_S1B_S1C_NSS_IJLi18EEEENSS_IJLi19ELi20EEEENSS_IJLi21EEEEEEENSS_IJLi18ELi19ELi20ELi21EEEElEENSB_INS5_IJSQ_SO_SO_SQ_SG_SG_S26_S28_EEENS5_IJST_SU_SV_SX_SW_SY_S18_SZ_EEENS5_IJS1I_SW_SX_S1J_S18_NSS_IJLi8EEEENSS_IJLi9ELi10EEEES12_EEENSS_IJLi8ELi9ELi10ELi11EEEElEENS5_IJNSB_INS5_IJSK_SO_SO_NSP_INS5_IJiS27_NS23_IiLi64EEEEEELb0EEES2S_EEENS5_IJST_SU_SV_SW_SX_EEENS5_IJS1I_SW_SX_NSS_IJLi5ELi6ELi7EEEENSS_IJLi8ELi9ELi10EEEEEEENSS_IJLi5ELi6ELi7ELi8ELi9ELi10EEEElEEEEES2Z_NS_31BlockToCTileMap_M00_N00_M01_N01ILi128ELi128ES1R_Lb0EEENS1_30ComputePtrOffsetOfStridedBatchILi1ELi1ELi1EvEELb1ELb0EEEvPKT0_S37_T1_PT2_T3_T4_T5_iT6_T7_T8_T9_T10_T11_,comdat
.Lfunc_end2:
	.size	_ZN2ck16tensor_operation6device12_GLOBAL__N_137kernel_grouped_conv_fwd_dl_multiple_dINS_32GridwiseGemmDlMultipleD_km_kn_mnILi256EDF16_fNS_5TupleIJDF16_EEEDF16_NS0_12element_wise11PassThroughES8_NS7_7AddReluELNS_25InMemoryDataOperationEnumE0ENS_16TensorDescriptorINS5_IJNS_5EmbedINS5_IJiiiEEESD_Lb0EEENS_11PassThroughIiEENS_3PadIiiiLb0EEESG_SG_NSC_INS5_IJiiEEESJ_Lb0EEESG_NS_23Merge_v2_magic_divisionISJ_EESM_NS_8RightPadIiiLb0EEESO_NS_7UnMergeISJ_Lb0EEESG_EEENS5_IJNS_8SequenceIJLi0EEEENSS_IJLi1EEEENSS_IJLi2EEEENSS_IJLi3EEEENSS_IJLi4EEEENSS_IJLi5EEEENSS_IJLi6EEEENSS_IJLi7ELi9EEEENSS_IJLi8ELi10EEEENSS_IJLi11EEEENSS_IJLi12EEEENSS_IJLi14EEEENSS_IJLi13EEEEEEENS5_IJNSS_IJLi1ELi2ELi3EEEESX_SY_SZ_NSS_IJLi7EEEENSS_IJLi8ELi9EEEENSS_IJLi10EEEES12_S13_S15_S14_NSS_IJLi15ELi16EEEENSS_IJLi17EEEEEEENSS_IJLi15ELi17ELi16EEEElEENSB_INS5_IJSQ_SO_SO_SQ_SG_EEENS5_IJST_SU_SV_SX_SW_EEENS5_IJNSS_IJLi1ELi2EEEESW_SX_NSS_IJLi5ELi6EEEES18_EEENSS_IJLi5ELi7ELi6EEEElEENSB_INS5_IJSK_SO_SO_EEENS5_IJST_SU_SV_EEENS5_IJS1I_SW_SX_EEENSS_IJLi3ELi4EEEElEELi128ELi128ELi16ELi2ELi4ELi4ELi1ENSS_IJLi8ELi2EEEES1S_NSS_IJLi8ELi1ELi1ELi2EEEENSS_IJLi2ELi1ELi128ELi1EEEENSS_IJLi1ELi2ELi0ELi3EEEES1V_NSS_IJLi4ELi1ELi1ELi2EEEES1V_NSS_IJLi1ELi1ELi1ELi2EEEES1T_S1U_S1V_S1V_S1W_S1V_S1X_NSS_IJLi0ELi1ELi2ELi3ELi4ELi5EEEELi5ELi4EEEDF16_NS5_IJPKDF16_EEEDF16_S8_S8_S9_NSB_INS5_IJSE_SG_SI_SG_SG_SK_SG_SM_SM_SO_SO_SQ_SG_SG_NSP_INS5_IJiNS_17integral_constantIiLi128EEEEEELb0EEENSF_INS23_IiLi2EEEEEEEENS5_IJST_SU_SV_SW_SX_SY_SZ_S10_S11_S12_S13_S14_S15_NSS_IJLi15EEEES1C_NSS_IJLi16EEEEEEENS5_IJS17_SX_SY_SZ_S18_S19_S1A_S12_S13_S15_S14_S1B_S1C_NSS_IJLi18EEEENSS_IJLi19ELi20EEEENSS_IJLi21EEEEEEENSS_IJLi18ELi19ELi20ELi21EEEElEENSB_INS5_IJSQ_SO_SO_SQ_SG_SG_S26_S28_EEENS5_IJST_SU_SV_SX_SW_SY_S18_SZ_EEENS5_IJS1I_SW_SX_S1J_S18_NSS_IJLi8EEEENSS_IJLi9ELi10EEEES12_EEENSS_IJLi8ELi9ELi10ELi11EEEElEENS5_IJNSB_INS5_IJSK_SO_SO_NSP_INS5_IJiS27_NS23_IiLi64EEEEEELb0EEES2S_EEENS5_IJST_SU_SV_SW_SX_EEENS5_IJS1I_SW_SX_NSS_IJLi5ELi6ELi7EEEENSS_IJLi8ELi9ELi10EEEEEEENSS_IJLi5ELi6ELi7ELi8ELi9ELi10EEEElEEEEES2Z_NS_31BlockToCTileMap_M00_N00_M01_N01ILi128ELi128ES1R_Lb0EEENS1_30ComputePtrOffsetOfStridedBatchILi1ELi1ELi1EvEELb1ELb0EEEvPKT0_S37_T1_PT2_T3_T4_T5_iT6_T7_T8_T9_T10_T11_, .Lfunc_end2-_ZN2ck16tensor_operation6device12_GLOBAL__N_137kernel_grouped_conv_fwd_dl_multiple_dINS_32GridwiseGemmDlMultipleD_km_kn_mnILi256EDF16_fNS_5TupleIJDF16_EEEDF16_NS0_12element_wise11PassThroughES8_NS7_7AddReluELNS_25InMemoryDataOperationEnumE0ENS_16TensorDescriptorINS5_IJNS_5EmbedINS5_IJiiiEEESD_Lb0EEENS_11PassThroughIiEENS_3PadIiiiLb0EEESG_SG_NSC_INS5_IJiiEEESJ_Lb0EEESG_NS_23Merge_v2_magic_divisionISJ_EESM_NS_8RightPadIiiLb0EEESO_NS_7UnMergeISJ_Lb0EEESG_EEENS5_IJNS_8SequenceIJLi0EEEENSS_IJLi1EEEENSS_IJLi2EEEENSS_IJLi3EEEENSS_IJLi4EEEENSS_IJLi5EEEENSS_IJLi6EEEENSS_IJLi7ELi9EEEENSS_IJLi8ELi10EEEENSS_IJLi11EEEENSS_IJLi12EEEENSS_IJLi14EEEENSS_IJLi13EEEEEEENS5_IJNSS_IJLi1ELi2ELi3EEEESX_SY_SZ_NSS_IJLi7EEEENSS_IJLi8ELi9EEEENSS_IJLi10EEEES12_S13_S15_S14_NSS_IJLi15ELi16EEEENSS_IJLi17EEEEEEENSS_IJLi15ELi17ELi16EEEElEENSB_INS5_IJSQ_SO_SO_SQ_SG_EEENS5_IJST_SU_SV_SX_SW_EEENS5_IJNSS_IJLi1ELi2EEEESW_SX_NSS_IJLi5ELi6EEEES18_EEENSS_IJLi5ELi7ELi6EEEElEENSB_INS5_IJSK_SO_SO_EEENS5_IJST_SU_SV_EEENS5_IJS1I_SW_SX_EEENSS_IJLi3ELi4EEEElEELi128ELi128ELi16ELi2ELi4ELi4ELi1ENSS_IJLi8ELi2EEEES1S_NSS_IJLi8ELi1ELi1ELi2EEEENSS_IJLi2ELi1ELi128ELi1EEEENSS_IJLi1ELi2ELi0ELi3EEEES1V_NSS_IJLi4ELi1ELi1ELi2EEEES1V_NSS_IJLi1ELi1ELi1ELi2EEEES1T_S1U_S1V_S1V_S1W_S1V_S1X_NSS_IJLi0ELi1ELi2ELi3ELi4ELi5EEEELi5ELi4EEEDF16_NS5_IJPKDF16_EEEDF16_S8_S8_S9_NSB_INS5_IJSE_SG_SI_SG_SG_SK_SG_SM_SM_SO_SO_SQ_SG_SG_NSP_INS5_IJiNS_17integral_constantIiLi128EEEEEELb0EEENSF_INS23_IiLi2EEEEEEEENS5_IJST_SU_SV_SW_SX_SY_SZ_S10_S11_S12_S13_S14_S15_NSS_IJLi15EEEES1C_NSS_IJLi16EEEEEEENS5_IJS17_SX_SY_SZ_S18_S19_S1A_S12_S13_S15_S14_S1B_S1C_NSS_IJLi18EEEENSS_IJLi19ELi20EEEENSS_IJLi21EEEEEEENSS_IJLi18ELi19ELi20ELi21EEEElEENSB_INS5_IJSQ_SO_SO_SQ_SG_SG_S26_S28_EEENS5_IJST_SU_SV_SX_SW_SY_S18_SZ_EEENS5_IJS1I_SW_SX_S1J_S18_NSS_IJLi8EEEENSS_IJLi9ELi10EEEES12_EEENSS_IJLi8ELi9ELi10ELi11EEEElEENS5_IJNSB_INS5_IJSK_SO_SO_NSP_INS5_IJiS27_NS23_IiLi64EEEEEELb0EEES2S_EEENS5_IJST_SU_SV_SW_SX_EEENS5_IJS1I_SW_SX_NSS_IJLi5ELi6ELi7EEEENSS_IJLi8ELi9ELi10EEEEEEENSS_IJLi5ELi6ELi7ELi8ELi9ELi10EEEElEEEEES2Z_NS_31BlockToCTileMap_M00_N00_M01_N01ILi128ELi128ES1R_Lb0EEENS1_30ComputePtrOffsetOfStridedBatchILi1ELi1ELi1EvEELb1ELb0EEEvPKT0_S37_T1_PT2_T3_T4_T5_iT6_T7_T8_T9_T10_T11_
                                        ; -- End function
	.set _ZN2ck16tensor_operation6device12_GLOBAL__N_137kernel_grouped_conv_fwd_dl_multiple_dINS_32GridwiseGemmDlMultipleD_km_kn_mnILi256EDF16_fNS_5TupleIJDF16_EEEDF16_NS0_12element_wise11PassThroughES8_NS7_7AddReluELNS_25InMemoryDataOperationEnumE0ENS_16TensorDescriptorINS5_IJNS_5EmbedINS5_IJiiiEEESD_Lb0EEENS_11PassThroughIiEENS_3PadIiiiLb0EEESG_SG_NSC_INS5_IJiiEEESJ_Lb0EEESG_NS_23Merge_v2_magic_divisionISJ_EESM_NS_8RightPadIiiLb0EEESO_NS_7UnMergeISJ_Lb0EEESG_EEENS5_IJNS_8SequenceIJLi0EEEENSS_IJLi1EEEENSS_IJLi2EEEENSS_IJLi3EEEENSS_IJLi4EEEENSS_IJLi5EEEENSS_IJLi6EEEENSS_IJLi7ELi9EEEENSS_IJLi8ELi10EEEENSS_IJLi11EEEENSS_IJLi12EEEENSS_IJLi14EEEENSS_IJLi13EEEEEEENS5_IJNSS_IJLi1ELi2ELi3EEEESX_SY_SZ_NSS_IJLi7EEEENSS_IJLi8ELi9EEEENSS_IJLi10EEEES12_S13_S15_S14_NSS_IJLi15ELi16EEEENSS_IJLi17EEEEEEENSS_IJLi15ELi17ELi16EEEElEENSB_INS5_IJSQ_SO_SO_SQ_SG_EEENS5_IJST_SU_SV_SX_SW_EEENS5_IJNSS_IJLi1ELi2EEEESW_SX_NSS_IJLi5ELi6EEEES18_EEENSS_IJLi5ELi7ELi6EEEElEENSB_INS5_IJSK_SO_SO_EEENS5_IJST_SU_SV_EEENS5_IJS1I_SW_SX_EEENSS_IJLi3ELi4EEEElEELi128ELi128ELi16ELi2ELi4ELi4ELi1ENSS_IJLi8ELi2EEEES1S_NSS_IJLi8ELi1ELi1ELi2EEEENSS_IJLi2ELi1ELi128ELi1EEEENSS_IJLi1ELi2ELi0ELi3EEEES1V_NSS_IJLi4ELi1ELi1ELi2EEEES1V_NSS_IJLi1ELi1ELi1ELi2EEEES1T_S1U_S1V_S1V_S1W_S1V_S1X_NSS_IJLi0ELi1ELi2ELi3ELi4ELi5EEEELi5ELi4EEEDF16_NS5_IJPKDF16_EEEDF16_S8_S8_S9_NSB_INS5_IJSE_SG_SI_SG_SG_SK_SG_SM_SM_SO_SO_SQ_SG_SG_NSP_INS5_IJiNS_17integral_constantIiLi128EEEEEELb0EEENSF_INS23_IiLi2EEEEEEEENS5_IJST_SU_SV_SW_SX_SY_SZ_S10_S11_S12_S13_S14_S15_NSS_IJLi15EEEES1C_NSS_IJLi16EEEEEEENS5_IJS17_SX_SY_SZ_S18_S19_S1A_S12_S13_S15_S14_S1B_S1C_NSS_IJLi18EEEENSS_IJLi19ELi20EEEENSS_IJLi21EEEEEEENSS_IJLi18ELi19ELi20ELi21EEEElEENSB_INS5_IJSQ_SO_SO_SQ_SG_SG_S26_S28_EEENS5_IJST_SU_SV_SX_SW_SY_S18_SZ_EEENS5_IJS1I_SW_SX_S1J_S18_NSS_IJLi8EEEENSS_IJLi9ELi10EEEES12_EEENSS_IJLi8ELi9ELi10ELi11EEEElEENS5_IJNSB_INS5_IJSK_SO_SO_NSP_INS5_IJiS27_NS23_IiLi64EEEEEELb0EEES2S_EEENS5_IJST_SU_SV_SW_SX_EEENS5_IJS1I_SW_SX_NSS_IJLi5ELi6ELi7EEEENSS_IJLi8ELi9ELi10EEEEEEENSS_IJLi5ELi6ELi7ELi8ELi9ELi10EEEElEEEEES2Z_NS_31BlockToCTileMap_M00_N00_M01_N01ILi128ELi128ES1R_Lb0EEENS1_30ComputePtrOffsetOfStridedBatchILi1ELi1ELi1EvEELb1ELb0EEEvPKT0_S37_T1_PT2_T3_T4_T5_iT6_T7_T8_T9_T10_T11_.num_vgpr, 125
	.set _ZN2ck16tensor_operation6device12_GLOBAL__N_137kernel_grouped_conv_fwd_dl_multiple_dINS_32GridwiseGemmDlMultipleD_km_kn_mnILi256EDF16_fNS_5TupleIJDF16_EEEDF16_NS0_12element_wise11PassThroughES8_NS7_7AddReluELNS_25InMemoryDataOperationEnumE0ENS_16TensorDescriptorINS5_IJNS_5EmbedINS5_IJiiiEEESD_Lb0EEENS_11PassThroughIiEENS_3PadIiiiLb0EEESG_SG_NSC_INS5_IJiiEEESJ_Lb0EEESG_NS_23Merge_v2_magic_divisionISJ_EESM_NS_8RightPadIiiLb0EEESO_NS_7UnMergeISJ_Lb0EEESG_EEENS5_IJNS_8SequenceIJLi0EEEENSS_IJLi1EEEENSS_IJLi2EEEENSS_IJLi3EEEENSS_IJLi4EEEENSS_IJLi5EEEENSS_IJLi6EEEENSS_IJLi7ELi9EEEENSS_IJLi8ELi10EEEENSS_IJLi11EEEENSS_IJLi12EEEENSS_IJLi14EEEENSS_IJLi13EEEEEEENS5_IJNSS_IJLi1ELi2ELi3EEEESX_SY_SZ_NSS_IJLi7EEEENSS_IJLi8ELi9EEEENSS_IJLi10EEEES12_S13_S15_S14_NSS_IJLi15ELi16EEEENSS_IJLi17EEEEEEENSS_IJLi15ELi17ELi16EEEElEENSB_INS5_IJSQ_SO_SO_SQ_SG_EEENS5_IJST_SU_SV_SX_SW_EEENS5_IJNSS_IJLi1ELi2EEEESW_SX_NSS_IJLi5ELi6EEEES18_EEENSS_IJLi5ELi7ELi6EEEElEENSB_INS5_IJSK_SO_SO_EEENS5_IJST_SU_SV_EEENS5_IJS1I_SW_SX_EEENSS_IJLi3ELi4EEEElEELi128ELi128ELi16ELi2ELi4ELi4ELi1ENSS_IJLi8ELi2EEEES1S_NSS_IJLi8ELi1ELi1ELi2EEEENSS_IJLi2ELi1ELi128ELi1EEEENSS_IJLi1ELi2ELi0ELi3EEEES1V_NSS_IJLi4ELi1ELi1ELi2EEEES1V_NSS_IJLi1ELi1ELi1ELi2EEEES1T_S1U_S1V_S1V_S1W_S1V_S1X_NSS_IJLi0ELi1ELi2ELi3ELi4ELi5EEEELi5ELi4EEEDF16_NS5_IJPKDF16_EEEDF16_S8_S8_S9_NSB_INS5_IJSE_SG_SI_SG_SG_SK_SG_SM_SM_SO_SO_SQ_SG_SG_NSP_INS5_IJiNS_17integral_constantIiLi128EEEEEELb0EEENSF_INS23_IiLi2EEEEEEEENS5_IJST_SU_SV_SW_SX_SY_SZ_S10_S11_S12_S13_S14_S15_NSS_IJLi15EEEES1C_NSS_IJLi16EEEEEEENS5_IJS17_SX_SY_SZ_S18_S19_S1A_S12_S13_S15_S14_S1B_S1C_NSS_IJLi18EEEENSS_IJLi19ELi20EEEENSS_IJLi21EEEEEEENSS_IJLi18ELi19ELi20ELi21EEEElEENSB_INS5_IJSQ_SO_SO_SQ_SG_SG_S26_S28_EEENS5_IJST_SU_SV_SX_SW_SY_S18_SZ_EEENS5_IJS1I_SW_SX_S1J_S18_NSS_IJLi8EEEENSS_IJLi9ELi10EEEES12_EEENSS_IJLi8ELi9ELi10ELi11EEEElEENS5_IJNSB_INS5_IJSK_SO_SO_NSP_INS5_IJiS27_NS23_IiLi64EEEEEELb0EEES2S_EEENS5_IJST_SU_SV_SW_SX_EEENS5_IJS1I_SW_SX_NSS_IJLi5ELi6ELi7EEEENSS_IJLi8ELi9ELi10EEEEEEENSS_IJLi5ELi6ELi7ELi8ELi9ELi10EEEElEEEEES2Z_NS_31BlockToCTileMap_M00_N00_M01_N01ILi128ELi128ES1R_Lb0EEENS1_30ComputePtrOffsetOfStridedBatchILi1ELi1ELi1EvEELb1ELb0EEEvPKT0_S37_T1_PT2_T3_T4_T5_iT6_T7_T8_T9_T10_T11_.num_agpr, 0
	.set _ZN2ck16tensor_operation6device12_GLOBAL__N_137kernel_grouped_conv_fwd_dl_multiple_dINS_32GridwiseGemmDlMultipleD_km_kn_mnILi256EDF16_fNS_5TupleIJDF16_EEEDF16_NS0_12element_wise11PassThroughES8_NS7_7AddReluELNS_25InMemoryDataOperationEnumE0ENS_16TensorDescriptorINS5_IJNS_5EmbedINS5_IJiiiEEESD_Lb0EEENS_11PassThroughIiEENS_3PadIiiiLb0EEESG_SG_NSC_INS5_IJiiEEESJ_Lb0EEESG_NS_23Merge_v2_magic_divisionISJ_EESM_NS_8RightPadIiiLb0EEESO_NS_7UnMergeISJ_Lb0EEESG_EEENS5_IJNS_8SequenceIJLi0EEEENSS_IJLi1EEEENSS_IJLi2EEEENSS_IJLi3EEEENSS_IJLi4EEEENSS_IJLi5EEEENSS_IJLi6EEEENSS_IJLi7ELi9EEEENSS_IJLi8ELi10EEEENSS_IJLi11EEEENSS_IJLi12EEEENSS_IJLi14EEEENSS_IJLi13EEEEEEENS5_IJNSS_IJLi1ELi2ELi3EEEESX_SY_SZ_NSS_IJLi7EEEENSS_IJLi8ELi9EEEENSS_IJLi10EEEES12_S13_S15_S14_NSS_IJLi15ELi16EEEENSS_IJLi17EEEEEEENSS_IJLi15ELi17ELi16EEEElEENSB_INS5_IJSQ_SO_SO_SQ_SG_EEENS5_IJST_SU_SV_SX_SW_EEENS5_IJNSS_IJLi1ELi2EEEESW_SX_NSS_IJLi5ELi6EEEES18_EEENSS_IJLi5ELi7ELi6EEEElEENSB_INS5_IJSK_SO_SO_EEENS5_IJST_SU_SV_EEENS5_IJS1I_SW_SX_EEENSS_IJLi3ELi4EEEElEELi128ELi128ELi16ELi2ELi4ELi4ELi1ENSS_IJLi8ELi2EEEES1S_NSS_IJLi8ELi1ELi1ELi2EEEENSS_IJLi2ELi1ELi128ELi1EEEENSS_IJLi1ELi2ELi0ELi3EEEES1V_NSS_IJLi4ELi1ELi1ELi2EEEES1V_NSS_IJLi1ELi1ELi1ELi2EEEES1T_S1U_S1V_S1V_S1W_S1V_S1X_NSS_IJLi0ELi1ELi2ELi3ELi4ELi5EEEELi5ELi4EEEDF16_NS5_IJPKDF16_EEEDF16_S8_S8_S9_NSB_INS5_IJSE_SG_SI_SG_SG_SK_SG_SM_SM_SO_SO_SQ_SG_SG_NSP_INS5_IJiNS_17integral_constantIiLi128EEEEEELb0EEENSF_INS23_IiLi2EEEEEEEENS5_IJST_SU_SV_SW_SX_SY_SZ_S10_S11_S12_S13_S14_S15_NSS_IJLi15EEEES1C_NSS_IJLi16EEEEEEENS5_IJS17_SX_SY_SZ_S18_S19_S1A_S12_S13_S15_S14_S1B_S1C_NSS_IJLi18EEEENSS_IJLi19ELi20EEEENSS_IJLi21EEEEEEENSS_IJLi18ELi19ELi20ELi21EEEElEENSB_INS5_IJSQ_SO_SO_SQ_SG_SG_S26_S28_EEENS5_IJST_SU_SV_SX_SW_SY_S18_SZ_EEENS5_IJS1I_SW_SX_S1J_S18_NSS_IJLi8EEEENSS_IJLi9ELi10EEEES12_EEENSS_IJLi8ELi9ELi10ELi11EEEElEENS5_IJNSB_INS5_IJSK_SO_SO_NSP_INS5_IJiS27_NS23_IiLi64EEEEEELb0EEES2S_EEENS5_IJST_SU_SV_SW_SX_EEENS5_IJS1I_SW_SX_NSS_IJLi5ELi6ELi7EEEENSS_IJLi8ELi9ELi10EEEEEEENSS_IJLi5ELi6ELi7ELi8ELi9ELi10EEEElEEEEES2Z_NS_31BlockToCTileMap_M00_N00_M01_N01ILi128ELi128ES1R_Lb0EEENS1_30ComputePtrOffsetOfStridedBatchILi1ELi1ELi1EvEELb1ELb0EEEvPKT0_S37_T1_PT2_T3_T4_T5_iT6_T7_T8_T9_T10_T11_.numbered_sgpr, 60
	.set _ZN2ck16tensor_operation6device12_GLOBAL__N_137kernel_grouped_conv_fwd_dl_multiple_dINS_32GridwiseGemmDlMultipleD_km_kn_mnILi256EDF16_fNS_5TupleIJDF16_EEEDF16_NS0_12element_wise11PassThroughES8_NS7_7AddReluELNS_25InMemoryDataOperationEnumE0ENS_16TensorDescriptorINS5_IJNS_5EmbedINS5_IJiiiEEESD_Lb0EEENS_11PassThroughIiEENS_3PadIiiiLb0EEESG_SG_NSC_INS5_IJiiEEESJ_Lb0EEESG_NS_23Merge_v2_magic_divisionISJ_EESM_NS_8RightPadIiiLb0EEESO_NS_7UnMergeISJ_Lb0EEESG_EEENS5_IJNS_8SequenceIJLi0EEEENSS_IJLi1EEEENSS_IJLi2EEEENSS_IJLi3EEEENSS_IJLi4EEEENSS_IJLi5EEEENSS_IJLi6EEEENSS_IJLi7ELi9EEEENSS_IJLi8ELi10EEEENSS_IJLi11EEEENSS_IJLi12EEEENSS_IJLi14EEEENSS_IJLi13EEEEEEENS5_IJNSS_IJLi1ELi2ELi3EEEESX_SY_SZ_NSS_IJLi7EEEENSS_IJLi8ELi9EEEENSS_IJLi10EEEES12_S13_S15_S14_NSS_IJLi15ELi16EEEENSS_IJLi17EEEEEEENSS_IJLi15ELi17ELi16EEEElEENSB_INS5_IJSQ_SO_SO_SQ_SG_EEENS5_IJST_SU_SV_SX_SW_EEENS5_IJNSS_IJLi1ELi2EEEESW_SX_NSS_IJLi5ELi6EEEES18_EEENSS_IJLi5ELi7ELi6EEEElEENSB_INS5_IJSK_SO_SO_EEENS5_IJST_SU_SV_EEENS5_IJS1I_SW_SX_EEENSS_IJLi3ELi4EEEElEELi128ELi128ELi16ELi2ELi4ELi4ELi1ENSS_IJLi8ELi2EEEES1S_NSS_IJLi8ELi1ELi1ELi2EEEENSS_IJLi2ELi1ELi128ELi1EEEENSS_IJLi1ELi2ELi0ELi3EEEES1V_NSS_IJLi4ELi1ELi1ELi2EEEES1V_NSS_IJLi1ELi1ELi1ELi2EEEES1T_S1U_S1V_S1V_S1W_S1V_S1X_NSS_IJLi0ELi1ELi2ELi3ELi4ELi5EEEELi5ELi4EEEDF16_NS5_IJPKDF16_EEEDF16_S8_S8_S9_NSB_INS5_IJSE_SG_SI_SG_SG_SK_SG_SM_SM_SO_SO_SQ_SG_SG_NSP_INS5_IJiNS_17integral_constantIiLi128EEEEEELb0EEENSF_INS23_IiLi2EEEEEEEENS5_IJST_SU_SV_SW_SX_SY_SZ_S10_S11_S12_S13_S14_S15_NSS_IJLi15EEEES1C_NSS_IJLi16EEEEEEENS5_IJS17_SX_SY_SZ_S18_S19_S1A_S12_S13_S15_S14_S1B_S1C_NSS_IJLi18EEEENSS_IJLi19ELi20EEEENSS_IJLi21EEEEEEENSS_IJLi18ELi19ELi20ELi21EEEElEENSB_INS5_IJSQ_SO_SO_SQ_SG_SG_S26_S28_EEENS5_IJST_SU_SV_SX_SW_SY_S18_SZ_EEENS5_IJS1I_SW_SX_S1J_S18_NSS_IJLi8EEEENSS_IJLi9ELi10EEEES12_EEENSS_IJLi8ELi9ELi10ELi11EEEElEENS5_IJNSB_INS5_IJSK_SO_SO_NSP_INS5_IJiS27_NS23_IiLi64EEEEEELb0EEES2S_EEENS5_IJST_SU_SV_SW_SX_EEENS5_IJS1I_SW_SX_NSS_IJLi5ELi6ELi7EEEENSS_IJLi8ELi9ELi10EEEEEEENSS_IJLi5ELi6ELi7ELi8ELi9ELi10EEEElEEEEES2Z_NS_31BlockToCTileMap_M00_N00_M01_N01ILi128ELi128ES1R_Lb0EEENS1_30ComputePtrOffsetOfStridedBatchILi1ELi1ELi1EvEELb1ELb0EEEvPKT0_S37_T1_PT2_T3_T4_T5_iT6_T7_T8_T9_T10_T11_.num_named_barrier, 0
	.set _ZN2ck16tensor_operation6device12_GLOBAL__N_137kernel_grouped_conv_fwd_dl_multiple_dINS_32GridwiseGemmDlMultipleD_km_kn_mnILi256EDF16_fNS_5TupleIJDF16_EEEDF16_NS0_12element_wise11PassThroughES8_NS7_7AddReluELNS_25InMemoryDataOperationEnumE0ENS_16TensorDescriptorINS5_IJNS_5EmbedINS5_IJiiiEEESD_Lb0EEENS_11PassThroughIiEENS_3PadIiiiLb0EEESG_SG_NSC_INS5_IJiiEEESJ_Lb0EEESG_NS_23Merge_v2_magic_divisionISJ_EESM_NS_8RightPadIiiLb0EEESO_NS_7UnMergeISJ_Lb0EEESG_EEENS5_IJNS_8SequenceIJLi0EEEENSS_IJLi1EEEENSS_IJLi2EEEENSS_IJLi3EEEENSS_IJLi4EEEENSS_IJLi5EEEENSS_IJLi6EEEENSS_IJLi7ELi9EEEENSS_IJLi8ELi10EEEENSS_IJLi11EEEENSS_IJLi12EEEENSS_IJLi14EEEENSS_IJLi13EEEEEEENS5_IJNSS_IJLi1ELi2ELi3EEEESX_SY_SZ_NSS_IJLi7EEEENSS_IJLi8ELi9EEEENSS_IJLi10EEEES12_S13_S15_S14_NSS_IJLi15ELi16EEEENSS_IJLi17EEEEEEENSS_IJLi15ELi17ELi16EEEElEENSB_INS5_IJSQ_SO_SO_SQ_SG_EEENS5_IJST_SU_SV_SX_SW_EEENS5_IJNSS_IJLi1ELi2EEEESW_SX_NSS_IJLi5ELi6EEEES18_EEENSS_IJLi5ELi7ELi6EEEElEENSB_INS5_IJSK_SO_SO_EEENS5_IJST_SU_SV_EEENS5_IJS1I_SW_SX_EEENSS_IJLi3ELi4EEEElEELi128ELi128ELi16ELi2ELi4ELi4ELi1ENSS_IJLi8ELi2EEEES1S_NSS_IJLi8ELi1ELi1ELi2EEEENSS_IJLi2ELi1ELi128ELi1EEEENSS_IJLi1ELi2ELi0ELi3EEEES1V_NSS_IJLi4ELi1ELi1ELi2EEEES1V_NSS_IJLi1ELi1ELi1ELi2EEEES1T_S1U_S1V_S1V_S1W_S1V_S1X_NSS_IJLi0ELi1ELi2ELi3ELi4ELi5EEEELi5ELi4EEEDF16_NS5_IJPKDF16_EEEDF16_S8_S8_S9_NSB_INS5_IJSE_SG_SI_SG_SG_SK_SG_SM_SM_SO_SO_SQ_SG_SG_NSP_INS5_IJiNS_17integral_constantIiLi128EEEEEELb0EEENSF_INS23_IiLi2EEEEEEEENS5_IJST_SU_SV_SW_SX_SY_SZ_S10_S11_S12_S13_S14_S15_NSS_IJLi15EEEES1C_NSS_IJLi16EEEEEEENS5_IJS17_SX_SY_SZ_S18_S19_S1A_S12_S13_S15_S14_S1B_S1C_NSS_IJLi18EEEENSS_IJLi19ELi20EEEENSS_IJLi21EEEEEEENSS_IJLi18ELi19ELi20ELi21EEEElEENSB_INS5_IJSQ_SO_SO_SQ_SG_SG_S26_S28_EEENS5_IJST_SU_SV_SX_SW_SY_S18_SZ_EEENS5_IJS1I_SW_SX_S1J_S18_NSS_IJLi8EEEENSS_IJLi9ELi10EEEES12_EEENSS_IJLi8ELi9ELi10ELi11EEEElEENS5_IJNSB_INS5_IJSK_SO_SO_NSP_INS5_IJiS27_NS23_IiLi64EEEEEELb0EEES2S_EEENS5_IJST_SU_SV_SW_SX_EEENS5_IJS1I_SW_SX_NSS_IJLi5ELi6ELi7EEEENSS_IJLi8ELi9ELi10EEEEEEENSS_IJLi5ELi6ELi7ELi8ELi9ELi10EEEElEEEEES2Z_NS_31BlockToCTileMap_M00_N00_M01_N01ILi128ELi128ES1R_Lb0EEENS1_30ComputePtrOffsetOfStridedBatchILi1ELi1ELi1EvEELb1ELb0EEEvPKT0_S37_T1_PT2_T3_T4_T5_iT6_T7_T8_T9_T10_T11_.private_seg_size, 0
	.set _ZN2ck16tensor_operation6device12_GLOBAL__N_137kernel_grouped_conv_fwd_dl_multiple_dINS_32GridwiseGemmDlMultipleD_km_kn_mnILi256EDF16_fNS_5TupleIJDF16_EEEDF16_NS0_12element_wise11PassThroughES8_NS7_7AddReluELNS_25InMemoryDataOperationEnumE0ENS_16TensorDescriptorINS5_IJNS_5EmbedINS5_IJiiiEEESD_Lb0EEENS_11PassThroughIiEENS_3PadIiiiLb0EEESG_SG_NSC_INS5_IJiiEEESJ_Lb0EEESG_NS_23Merge_v2_magic_divisionISJ_EESM_NS_8RightPadIiiLb0EEESO_NS_7UnMergeISJ_Lb0EEESG_EEENS5_IJNS_8SequenceIJLi0EEEENSS_IJLi1EEEENSS_IJLi2EEEENSS_IJLi3EEEENSS_IJLi4EEEENSS_IJLi5EEEENSS_IJLi6EEEENSS_IJLi7ELi9EEEENSS_IJLi8ELi10EEEENSS_IJLi11EEEENSS_IJLi12EEEENSS_IJLi14EEEENSS_IJLi13EEEEEEENS5_IJNSS_IJLi1ELi2ELi3EEEESX_SY_SZ_NSS_IJLi7EEEENSS_IJLi8ELi9EEEENSS_IJLi10EEEES12_S13_S15_S14_NSS_IJLi15ELi16EEEENSS_IJLi17EEEEEEENSS_IJLi15ELi17ELi16EEEElEENSB_INS5_IJSQ_SO_SO_SQ_SG_EEENS5_IJST_SU_SV_SX_SW_EEENS5_IJNSS_IJLi1ELi2EEEESW_SX_NSS_IJLi5ELi6EEEES18_EEENSS_IJLi5ELi7ELi6EEEElEENSB_INS5_IJSK_SO_SO_EEENS5_IJST_SU_SV_EEENS5_IJS1I_SW_SX_EEENSS_IJLi3ELi4EEEElEELi128ELi128ELi16ELi2ELi4ELi4ELi1ENSS_IJLi8ELi2EEEES1S_NSS_IJLi8ELi1ELi1ELi2EEEENSS_IJLi2ELi1ELi128ELi1EEEENSS_IJLi1ELi2ELi0ELi3EEEES1V_NSS_IJLi4ELi1ELi1ELi2EEEES1V_NSS_IJLi1ELi1ELi1ELi2EEEES1T_S1U_S1V_S1V_S1W_S1V_S1X_NSS_IJLi0ELi1ELi2ELi3ELi4ELi5EEEELi5ELi4EEEDF16_NS5_IJPKDF16_EEEDF16_S8_S8_S9_NSB_INS5_IJSE_SG_SI_SG_SG_SK_SG_SM_SM_SO_SO_SQ_SG_SG_NSP_INS5_IJiNS_17integral_constantIiLi128EEEEEELb0EEENSF_INS23_IiLi2EEEEEEEENS5_IJST_SU_SV_SW_SX_SY_SZ_S10_S11_S12_S13_S14_S15_NSS_IJLi15EEEES1C_NSS_IJLi16EEEEEEENS5_IJS17_SX_SY_SZ_S18_S19_S1A_S12_S13_S15_S14_S1B_S1C_NSS_IJLi18EEEENSS_IJLi19ELi20EEEENSS_IJLi21EEEEEEENSS_IJLi18ELi19ELi20ELi21EEEElEENSB_INS5_IJSQ_SO_SO_SQ_SG_SG_S26_S28_EEENS5_IJST_SU_SV_SX_SW_SY_S18_SZ_EEENS5_IJS1I_SW_SX_S1J_S18_NSS_IJLi8EEEENSS_IJLi9ELi10EEEES12_EEENSS_IJLi8ELi9ELi10ELi11EEEElEENS5_IJNSB_INS5_IJSK_SO_SO_NSP_INS5_IJiS27_NS23_IiLi64EEEEEELb0EEES2S_EEENS5_IJST_SU_SV_SW_SX_EEENS5_IJS1I_SW_SX_NSS_IJLi5ELi6ELi7EEEENSS_IJLi8ELi9ELi10EEEEEEENSS_IJLi5ELi6ELi7ELi8ELi9ELi10EEEElEEEEES2Z_NS_31BlockToCTileMap_M00_N00_M01_N01ILi128ELi128ES1R_Lb0EEENS1_30ComputePtrOffsetOfStridedBatchILi1ELi1ELi1EvEELb1ELb0EEEvPKT0_S37_T1_PT2_T3_T4_T5_iT6_T7_T8_T9_T10_T11_.uses_vcc, 1
	.set _ZN2ck16tensor_operation6device12_GLOBAL__N_137kernel_grouped_conv_fwd_dl_multiple_dINS_32GridwiseGemmDlMultipleD_km_kn_mnILi256EDF16_fNS_5TupleIJDF16_EEEDF16_NS0_12element_wise11PassThroughES8_NS7_7AddReluELNS_25InMemoryDataOperationEnumE0ENS_16TensorDescriptorINS5_IJNS_5EmbedINS5_IJiiiEEESD_Lb0EEENS_11PassThroughIiEENS_3PadIiiiLb0EEESG_SG_NSC_INS5_IJiiEEESJ_Lb0EEESG_NS_23Merge_v2_magic_divisionISJ_EESM_NS_8RightPadIiiLb0EEESO_NS_7UnMergeISJ_Lb0EEESG_EEENS5_IJNS_8SequenceIJLi0EEEENSS_IJLi1EEEENSS_IJLi2EEEENSS_IJLi3EEEENSS_IJLi4EEEENSS_IJLi5EEEENSS_IJLi6EEEENSS_IJLi7ELi9EEEENSS_IJLi8ELi10EEEENSS_IJLi11EEEENSS_IJLi12EEEENSS_IJLi14EEEENSS_IJLi13EEEEEEENS5_IJNSS_IJLi1ELi2ELi3EEEESX_SY_SZ_NSS_IJLi7EEEENSS_IJLi8ELi9EEEENSS_IJLi10EEEES12_S13_S15_S14_NSS_IJLi15ELi16EEEENSS_IJLi17EEEEEEENSS_IJLi15ELi17ELi16EEEElEENSB_INS5_IJSQ_SO_SO_SQ_SG_EEENS5_IJST_SU_SV_SX_SW_EEENS5_IJNSS_IJLi1ELi2EEEESW_SX_NSS_IJLi5ELi6EEEES18_EEENSS_IJLi5ELi7ELi6EEEElEENSB_INS5_IJSK_SO_SO_EEENS5_IJST_SU_SV_EEENS5_IJS1I_SW_SX_EEENSS_IJLi3ELi4EEEElEELi128ELi128ELi16ELi2ELi4ELi4ELi1ENSS_IJLi8ELi2EEEES1S_NSS_IJLi8ELi1ELi1ELi2EEEENSS_IJLi2ELi1ELi128ELi1EEEENSS_IJLi1ELi2ELi0ELi3EEEES1V_NSS_IJLi4ELi1ELi1ELi2EEEES1V_NSS_IJLi1ELi1ELi1ELi2EEEES1T_S1U_S1V_S1V_S1W_S1V_S1X_NSS_IJLi0ELi1ELi2ELi3ELi4ELi5EEEELi5ELi4EEEDF16_NS5_IJPKDF16_EEEDF16_S8_S8_S9_NSB_INS5_IJSE_SG_SI_SG_SG_SK_SG_SM_SM_SO_SO_SQ_SG_SG_NSP_INS5_IJiNS_17integral_constantIiLi128EEEEEELb0EEENSF_INS23_IiLi2EEEEEEEENS5_IJST_SU_SV_SW_SX_SY_SZ_S10_S11_S12_S13_S14_S15_NSS_IJLi15EEEES1C_NSS_IJLi16EEEEEEENS5_IJS17_SX_SY_SZ_S18_S19_S1A_S12_S13_S15_S14_S1B_S1C_NSS_IJLi18EEEENSS_IJLi19ELi20EEEENSS_IJLi21EEEEEEENSS_IJLi18ELi19ELi20ELi21EEEElEENSB_INS5_IJSQ_SO_SO_SQ_SG_SG_S26_S28_EEENS5_IJST_SU_SV_SX_SW_SY_S18_SZ_EEENS5_IJS1I_SW_SX_S1J_S18_NSS_IJLi8EEEENSS_IJLi9ELi10EEEES12_EEENSS_IJLi8ELi9ELi10ELi11EEEElEENS5_IJNSB_INS5_IJSK_SO_SO_NSP_INS5_IJiS27_NS23_IiLi64EEEEEELb0EEES2S_EEENS5_IJST_SU_SV_SW_SX_EEENS5_IJS1I_SW_SX_NSS_IJLi5ELi6ELi7EEEENSS_IJLi8ELi9ELi10EEEEEEENSS_IJLi5ELi6ELi7ELi8ELi9ELi10EEEElEEEEES2Z_NS_31BlockToCTileMap_M00_N00_M01_N01ILi128ELi128ES1R_Lb0EEENS1_30ComputePtrOffsetOfStridedBatchILi1ELi1ELi1EvEELb1ELb0EEEvPKT0_S37_T1_PT2_T3_T4_T5_iT6_T7_T8_T9_T10_T11_.uses_flat_scratch, 0
	.set _ZN2ck16tensor_operation6device12_GLOBAL__N_137kernel_grouped_conv_fwd_dl_multiple_dINS_32GridwiseGemmDlMultipleD_km_kn_mnILi256EDF16_fNS_5TupleIJDF16_EEEDF16_NS0_12element_wise11PassThroughES8_NS7_7AddReluELNS_25InMemoryDataOperationEnumE0ENS_16TensorDescriptorINS5_IJNS_5EmbedINS5_IJiiiEEESD_Lb0EEENS_11PassThroughIiEENS_3PadIiiiLb0EEESG_SG_NSC_INS5_IJiiEEESJ_Lb0EEESG_NS_23Merge_v2_magic_divisionISJ_EESM_NS_8RightPadIiiLb0EEESO_NS_7UnMergeISJ_Lb0EEESG_EEENS5_IJNS_8SequenceIJLi0EEEENSS_IJLi1EEEENSS_IJLi2EEEENSS_IJLi3EEEENSS_IJLi4EEEENSS_IJLi5EEEENSS_IJLi6EEEENSS_IJLi7ELi9EEEENSS_IJLi8ELi10EEEENSS_IJLi11EEEENSS_IJLi12EEEENSS_IJLi14EEEENSS_IJLi13EEEEEEENS5_IJNSS_IJLi1ELi2ELi3EEEESX_SY_SZ_NSS_IJLi7EEEENSS_IJLi8ELi9EEEENSS_IJLi10EEEES12_S13_S15_S14_NSS_IJLi15ELi16EEEENSS_IJLi17EEEEEEENSS_IJLi15ELi17ELi16EEEElEENSB_INS5_IJSQ_SO_SO_SQ_SG_EEENS5_IJST_SU_SV_SX_SW_EEENS5_IJNSS_IJLi1ELi2EEEESW_SX_NSS_IJLi5ELi6EEEES18_EEENSS_IJLi5ELi7ELi6EEEElEENSB_INS5_IJSK_SO_SO_EEENS5_IJST_SU_SV_EEENS5_IJS1I_SW_SX_EEENSS_IJLi3ELi4EEEElEELi128ELi128ELi16ELi2ELi4ELi4ELi1ENSS_IJLi8ELi2EEEES1S_NSS_IJLi8ELi1ELi1ELi2EEEENSS_IJLi2ELi1ELi128ELi1EEEENSS_IJLi1ELi2ELi0ELi3EEEES1V_NSS_IJLi4ELi1ELi1ELi2EEEES1V_NSS_IJLi1ELi1ELi1ELi2EEEES1T_S1U_S1V_S1V_S1W_S1V_S1X_NSS_IJLi0ELi1ELi2ELi3ELi4ELi5EEEELi5ELi4EEEDF16_NS5_IJPKDF16_EEEDF16_S8_S8_S9_NSB_INS5_IJSE_SG_SI_SG_SG_SK_SG_SM_SM_SO_SO_SQ_SG_SG_NSP_INS5_IJiNS_17integral_constantIiLi128EEEEEELb0EEENSF_INS23_IiLi2EEEEEEEENS5_IJST_SU_SV_SW_SX_SY_SZ_S10_S11_S12_S13_S14_S15_NSS_IJLi15EEEES1C_NSS_IJLi16EEEEEEENS5_IJS17_SX_SY_SZ_S18_S19_S1A_S12_S13_S15_S14_S1B_S1C_NSS_IJLi18EEEENSS_IJLi19ELi20EEEENSS_IJLi21EEEEEEENSS_IJLi18ELi19ELi20ELi21EEEElEENSB_INS5_IJSQ_SO_SO_SQ_SG_SG_S26_S28_EEENS5_IJST_SU_SV_SX_SW_SY_S18_SZ_EEENS5_IJS1I_SW_SX_S1J_S18_NSS_IJLi8EEEENSS_IJLi9ELi10EEEES12_EEENSS_IJLi8ELi9ELi10ELi11EEEElEENS5_IJNSB_INS5_IJSK_SO_SO_NSP_INS5_IJiS27_NS23_IiLi64EEEEEELb0EEES2S_EEENS5_IJST_SU_SV_SW_SX_EEENS5_IJS1I_SW_SX_NSS_IJLi5ELi6ELi7EEEENSS_IJLi8ELi9ELi10EEEEEEENSS_IJLi5ELi6ELi7ELi8ELi9ELi10EEEElEEEEES2Z_NS_31BlockToCTileMap_M00_N00_M01_N01ILi128ELi128ES1R_Lb0EEENS1_30ComputePtrOffsetOfStridedBatchILi1ELi1ELi1EvEELb1ELb0EEEvPKT0_S37_T1_PT2_T3_T4_T5_iT6_T7_T8_T9_T10_T11_.has_dyn_sized_stack, 0
	.set _ZN2ck16tensor_operation6device12_GLOBAL__N_137kernel_grouped_conv_fwd_dl_multiple_dINS_32GridwiseGemmDlMultipleD_km_kn_mnILi256EDF16_fNS_5TupleIJDF16_EEEDF16_NS0_12element_wise11PassThroughES8_NS7_7AddReluELNS_25InMemoryDataOperationEnumE0ENS_16TensorDescriptorINS5_IJNS_5EmbedINS5_IJiiiEEESD_Lb0EEENS_11PassThroughIiEENS_3PadIiiiLb0EEESG_SG_NSC_INS5_IJiiEEESJ_Lb0EEESG_NS_23Merge_v2_magic_divisionISJ_EESM_NS_8RightPadIiiLb0EEESO_NS_7UnMergeISJ_Lb0EEESG_EEENS5_IJNS_8SequenceIJLi0EEEENSS_IJLi1EEEENSS_IJLi2EEEENSS_IJLi3EEEENSS_IJLi4EEEENSS_IJLi5EEEENSS_IJLi6EEEENSS_IJLi7ELi9EEEENSS_IJLi8ELi10EEEENSS_IJLi11EEEENSS_IJLi12EEEENSS_IJLi14EEEENSS_IJLi13EEEEEEENS5_IJNSS_IJLi1ELi2ELi3EEEESX_SY_SZ_NSS_IJLi7EEEENSS_IJLi8ELi9EEEENSS_IJLi10EEEES12_S13_S15_S14_NSS_IJLi15ELi16EEEENSS_IJLi17EEEEEEENSS_IJLi15ELi17ELi16EEEElEENSB_INS5_IJSQ_SO_SO_SQ_SG_EEENS5_IJST_SU_SV_SX_SW_EEENS5_IJNSS_IJLi1ELi2EEEESW_SX_NSS_IJLi5ELi6EEEES18_EEENSS_IJLi5ELi7ELi6EEEElEENSB_INS5_IJSK_SO_SO_EEENS5_IJST_SU_SV_EEENS5_IJS1I_SW_SX_EEENSS_IJLi3ELi4EEEElEELi128ELi128ELi16ELi2ELi4ELi4ELi1ENSS_IJLi8ELi2EEEES1S_NSS_IJLi8ELi1ELi1ELi2EEEENSS_IJLi2ELi1ELi128ELi1EEEENSS_IJLi1ELi2ELi0ELi3EEEES1V_NSS_IJLi4ELi1ELi1ELi2EEEES1V_NSS_IJLi1ELi1ELi1ELi2EEEES1T_S1U_S1V_S1V_S1W_S1V_S1X_NSS_IJLi0ELi1ELi2ELi3ELi4ELi5EEEELi5ELi4EEEDF16_NS5_IJPKDF16_EEEDF16_S8_S8_S9_NSB_INS5_IJSE_SG_SI_SG_SG_SK_SG_SM_SM_SO_SO_SQ_SG_SG_NSP_INS5_IJiNS_17integral_constantIiLi128EEEEEELb0EEENSF_INS23_IiLi2EEEEEEEENS5_IJST_SU_SV_SW_SX_SY_SZ_S10_S11_S12_S13_S14_S15_NSS_IJLi15EEEES1C_NSS_IJLi16EEEEEEENS5_IJS17_SX_SY_SZ_S18_S19_S1A_S12_S13_S15_S14_S1B_S1C_NSS_IJLi18EEEENSS_IJLi19ELi20EEEENSS_IJLi21EEEEEEENSS_IJLi18ELi19ELi20ELi21EEEElEENSB_INS5_IJSQ_SO_SO_SQ_SG_SG_S26_S28_EEENS5_IJST_SU_SV_SX_SW_SY_S18_SZ_EEENS5_IJS1I_SW_SX_S1J_S18_NSS_IJLi8EEEENSS_IJLi9ELi10EEEES12_EEENSS_IJLi8ELi9ELi10ELi11EEEElEENS5_IJNSB_INS5_IJSK_SO_SO_NSP_INS5_IJiS27_NS23_IiLi64EEEEEELb0EEES2S_EEENS5_IJST_SU_SV_SW_SX_EEENS5_IJS1I_SW_SX_NSS_IJLi5ELi6ELi7EEEENSS_IJLi8ELi9ELi10EEEEEEENSS_IJLi5ELi6ELi7ELi8ELi9ELi10EEEElEEEEES2Z_NS_31BlockToCTileMap_M00_N00_M01_N01ILi128ELi128ES1R_Lb0EEENS1_30ComputePtrOffsetOfStridedBatchILi1ELi1ELi1EvEELb1ELb0EEEvPKT0_S37_T1_PT2_T3_T4_T5_iT6_T7_T8_T9_T10_T11_.has_recursion, 0
	.set _ZN2ck16tensor_operation6device12_GLOBAL__N_137kernel_grouped_conv_fwd_dl_multiple_dINS_32GridwiseGemmDlMultipleD_km_kn_mnILi256EDF16_fNS_5TupleIJDF16_EEEDF16_NS0_12element_wise11PassThroughES8_NS7_7AddReluELNS_25InMemoryDataOperationEnumE0ENS_16TensorDescriptorINS5_IJNS_5EmbedINS5_IJiiiEEESD_Lb0EEENS_11PassThroughIiEENS_3PadIiiiLb0EEESG_SG_NSC_INS5_IJiiEEESJ_Lb0EEESG_NS_23Merge_v2_magic_divisionISJ_EESM_NS_8RightPadIiiLb0EEESO_NS_7UnMergeISJ_Lb0EEESG_EEENS5_IJNS_8SequenceIJLi0EEEENSS_IJLi1EEEENSS_IJLi2EEEENSS_IJLi3EEEENSS_IJLi4EEEENSS_IJLi5EEEENSS_IJLi6EEEENSS_IJLi7ELi9EEEENSS_IJLi8ELi10EEEENSS_IJLi11EEEENSS_IJLi12EEEENSS_IJLi14EEEENSS_IJLi13EEEEEEENS5_IJNSS_IJLi1ELi2ELi3EEEESX_SY_SZ_NSS_IJLi7EEEENSS_IJLi8ELi9EEEENSS_IJLi10EEEES12_S13_S15_S14_NSS_IJLi15ELi16EEEENSS_IJLi17EEEEEEENSS_IJLi15ELi17ELi16EEEElEENSB_INS5_IJSQ_SO_SO_SQ_SG_EEENS5_IJST_SU_SV_SX_SW_EEENS5_IJNSS_IJLi1ELi2EEEESW_SX_NSS_IJLi5ELi6EEEES18_EEENSS_IJLi5ELi7ELi6EEEElEENSB_INS5_IJSK_SO_SO_EEENS5_IJST_SU_SV_EEENS5_IJS1I_SW_SX_EEENSS_IJLi3ELi4EEEElEELi128ELi128ELi16ELi2ELi4ELi4ELi1ENSS_IJLi8ELi2EEEES1S_NSS_IJLi8ELi1ELi1ELi2EEEENSS_IJLi2ELi1ELi128ELi1EEEENSS_IJLi1ELi2ELi0ELi3EEEES1V_NSS_IJLi4ELi1ELi1ELi2EEEES1V_NSS_IJLi1ELi1ELi1ELi2EEEES1T_S1U_S1V_S1V_S1W_S1V_S1X_NSS_IJLi0ELi1ELi2ELi3ELi4ELi5EEEELi5ELi4EEEDF16_NS5_IJPKDF16_EEEDF16_S8_S8_S9_NSB_INS5_IJSE_SG_SI_SG_SG_SK_SG_SM_SM_SO_SO_SQ_SG_SG_NSP_INS5_IJiNS_17integral_constantIiLi128EEEEEELb0EEENSF_INS23_IiLi2EEEEEEEENS5_IJST_SU_SV_SW_SX_SY_SZ_S10_S11_S12_S13_S14_S15_NSS_IJLi15EEEES1C_NSS_IJLi16EEEEEEENS5_IJS17_SX_SY_SZ_S18_S19_S1A_S12_S13_S15_S14_S1B_S1C_NSS_IJLi18EEEENSS_IJLi19ELi20EEEENSS_IJLi21EEEEEEENSS_IJLi18ELi19ELi20ELi21EEEElEENSB_INS5_IJSQ_SO_SO_SQ_SG_SG_S26_S28_EEENS5_IJST_SU_SV_SX_SW_SY_S18_SZ_EEENS5_IJS1I_SW_SX_S1J_S18_NSS_IJLi8EEEENSS_IJLi9ELi10EEEES12_EEENSS_IJLi8ELi9ELi10ELi11EEEElEENS5_IJNSB_INS5_IJSK_SO_SO_NSP_INS5_IJiS27_NS23_IiLi64EEEEEELb0EEES2S_EEENS5_IJST_SU_SV_SW_SX_EEENS5_IJS1I_SW_SX_NSS_IJLi5ELi6ELi7EEEENSS_IJLi8ELi9ELi10EEEEEEENSS_IJLi5ELi6ELi7ELi8ELi9ELi10EEEElEEEEES2Z_NS_31BlockToCTileMap_M00_N00_M01_N01ILi128ELi128ES1R_Lb0EEENS1_30ComputePtrOffsetOfStridedBatchILi1ELi1ELi1EvEELb1ELb0EEEvPKT0_S37_T1_PT2_T3_T4_T5_iT6_T7_T8_T9_T10_T11_.has_indirect_call, 0
	.section	.AMDGPU.csdata,"",@progbits
; Kernel info:
; codeLenInByte = 20412
; TotalNumSgprs: 62
; NumVgprs: 125
; ScratchSize: 0
; MemoryBound: 0
; FloatMode: 240
; IeeeMode: 1
; LDSByteSize: 32768 bytes/workgroup (compile time only)
; SGPRBlocks: 0
; VGPRBlocks: 15
; NumSGPRsForWavesPerEU: 62
; NumVGPRsForWavesPerEU: 125
; Occupancy: 8
; WaveLimiterHint : 0
; COMPUTE_PGM_RSRC2:SCRATCH_EN: 0
; COMPUTE_PGM_RSRC2:USER_SGPR: 6
; COMPUTE_PGM_RSRC2:TRAP_HANDLER: 0
; COMPUTE_PGM_RSRC2:TGID_X_EN: 1
; COMPUTE_PGM_RSRC2:TGID_Y_EN: 0
; COMPUTE_PGM_RSRC2:TGID_Z_EN: 0
; COMPUTE_PGM_RSRC2:TIDIG_COMP_CNT: 0
	.section	.text._ZN2ck16tensor_operation6device12_GLOBAL__N_137kernel_grouped_conv_fwd_dl_multiple_dINS_32GridwiseGemmDlMultipleD_km_kn_mnILi256EDF16_fNS_5TupleIJDF16_EEEDF16_NS0_12element_wise11PassThroughES8_NS7_7AddReluELNS_25InMemoryDataOperationEnumE0ENS_16TensorDescriptorINS5_IJNS_5EmbedINS5_IJiiiEEESD_Lb0EEENS_11PassThroughIiEENS_3PadIiiiLb0EEESG_SG_NSC_INS5_IJiiEEESJ_Lb0EEESG_NS_23Merge_v2_magic_divisionISJ_EESM_NS_8RightPadIiiLb0EEESO_NS_7UnMergeISJ_Lb0EEESG_EEENS5_IJNS_8SequenceIJLi0EEEENSS_IJLi1EEEENSS_IJLi2EEEENSS_IJLi3EEEENSS_IJLi4EEEENSS_IJLi5EEEENSS_IJLi6EEEENSS_IJLi7ELi9EEEENSS_IJLi8ELi10EEEENSS_IJLi11EEEENSS_IJLi12EEEENSS_IJLi14EEEENSS_IJLi13EEEEEEENS5_IJNSS_IJLi1ELi2ELi3EEEESX_SY_SZ_NSS_IJLi7EEEENSS_IJLi8ELi9EEEENSS_IJLi10EEEES12_S13_S15_S14_NSS_IJLi15ELi16EEEENSS_IJLi17EEEEEEENSS_IJLi15ELi17ELi16EEEElEENSB_INS5_IJSQ_SO_SO_SQ_SG_EEENS5_IJST_SU_SV_SX_SW_EEENS5_IJNSS_IJLi1ELi2EEEESW_SX_NSS_IJLi5ELi6EEEES18_EEENSS_IJLi5ELi7ELi6EEEElEENSB_INS5_IJSK_SO_SO_EEENS5_IJST_SU_SV_EEENS5_IJS1I_SW_SX_EEENSS_IJLi3ELi4EEEElEELi128ELi128ELi16ELi2ELi4ELi4ELi1ENSS_IJLi8ELi2EEEES1S_NSS_IJLi8ELi1ELi1ELi2EEEENSS_IJLi2ELi1ELi128ELi1EEEENSS_IJLi1ELi2ELi0ELi3EEEES1V_NSS_IJLi4ELi1ELi1ELi2EEEES1V_NSS_IJLi1ELi1ELi1ELi2EEEES1T_S1U_S1V_S1V_S1W_S1V_S1X_NSS_IJLi0ELi1ELi2ELi3ELi4ELi5EEEELi5ELi4EEEDF16_NS5_IJPKDF16_EEEDF16_S8_S8_S9_NSB_INS5_IJSE_SG_SI_SG_SG_SK_SG_SM_SM_SO_SO_SQ_SG_SG_NSP_INS5_IJiNS_17integral_constantIiLi128EEEEEELb0EEENSF_INS23_IiLi2EEEEEEEENS5_IJST_SU_SV_SW_SX_SY_SZ_S10_S11_S12_S13_S14_S15_NSS_IJLi15EEEES1C_NSS_IJLi16EEEEEEENS5_IJS17_SX_SY_SZ_S18_S19_S1A_S12_S13_S15_S14_S1B_S1C_NSS_IJLi18EEEENSS_IJLi19ELi20EEEENSS_IJLi21EEEEEEENSS_IJLi18ELi19ELi20ELi21EEEElEENSB_INS5_IJSQ_SO_SO_SQ_SG_SG_S26_S28_EEENS5_IJST_SU_SV_SX_SW_SY_S18_SZ_EEENS5_IJS1I_SW_SX_S1J_S18_NSS_IJLi8EEEENSS_IJLi9ELi10EEEES12_EEENSS_IJLi8ELi9ELi10ELi11EEEElEENS5_IJNSB_INS5_IJSK_SO_SO_NSP_INS5_IJiS27_NS23_IiLi64EEEEEELb0EEES2S_EEENS5_IJST_SU_SV_SW_SX_EEENS5_IJS1I_SW_SX_NSS_IJLi5ELi6ELi7EEEENSS_IJLi8ELi9ELi10EEEEEEENSS_IJLi5ELi6ELi7ELi8ELi9ELi10EEEElEEEEES2Z_NS_31BlockToCTileMap_M00_N00_M01_N01ILi128ELi128ES1R_Lb0EEENS1_30ComputePtrOffsetOfStridedBatchILi1ELi1ELi1EvEELb0ELb1EEEvPKT0_S37_T1_PT2_T3_T4_T5_iT6_T7_T8_T9_T10_T11_,"axG",@progbits,_ZN2ck16tensor_operation6device12_GLOBAL__N_137kernel_grouped_conv_fwd_dl_multiple_dINS_32GridwiseGemmDlMultipleD_km_kn_mnILi256EDF16_fNS_5TupleIJDF16_EEEDF16_NS0_12element_wise11PassThroughES8_NS7_7AddReluELNS_25InMemoryDataOperationEnumE0ENS_16TensorDescriptorINS5_IJNS_5EmbedINS5_IJiiiEEESD_Lb0EEENS_11PassThroughIiEENS_3PadIiiiLb0EEESG_SG_NSC_INS5_IJiiEEESJ_Lb0EEESG_NS_23Merge_v2_magic_divisionISJ_EESM_NS_8RightPadIiiLb0EEESO_NS_7UnMergeISJ_Lb0EEESG_EEENS5_IJNS_8SequenceIJLi0EEEENSS_IJLi1EEEENSS_IJLi2EEEENSS_IJLi3EEEENSS_IJLi4EEEENSS_IJLi5EEEENSS_IJLi6EEEENSS_IJLi7ELi9EEEENSS_IJLi8ELi10EEEENSS_IJLi11EEEENSS_IJLi12EEEENSS_IJLi14EEEENSS_IJLi13EEEEEEENS5_IJNSS_IJLi1ELi2ELi3EEEESX_SY_SZ_NSS_IJLi7EEEENSS_IJLi8ELi9EEEENSS_IJLi10EEEES12_S13_S15_S14_NSS_IJLi15ELi16EEEENSS_IJLi17EEEEEEENSS_IJLi15ELi17ELi16EEEElEENSB_INS5_IJSQ_SO_SO_SQ_SG_EEENS5_IJST_SU_SV_SX_SW_EEENS5_IJNSS_IJLi1ELi2EEEESW_SX_NSS_IJLi5ELi6EEEES18_EEENSS_IJLi5ELi7ELi6EEEElEENSB_INS5_IJSK_SO_SO_EEENS5_IJST_SU_SV_EEENS5_IJS1I_SW_SX_EEENSS_IJLi3ELi4EEEElEELi128ELi128ELi16ELi2ELi4ELi4ELi1ENSS_IJLi8ELi2EEEES1S_NSS_IJLi8ELi1ELi1ELi2EEEENSS_IJLi2ELi1ELi128ELi1EEEENSS_IJLi1ELi2ELi0ELi3EEEES1V_NSS_IJLi4ELi1ELi1ELi2EEEES1V_NSS_IJLi1ELi1ELi1ELi2EEEES1T_S1U_S1V_S1V_S1W_S1V_S1X_NSS_IJLi0ELi1ELi2ELi3ELi4ELi5EEEELi5ELi4EEEDF16_NS5_IJPKDF16_EEEDF16_S8_S8_S9_NSB_INS5_IJSE_SG_SI_SG_SG_SK_SG_SM_SM_SO_SO_SQ_SG_SG_NSP_INS5_IJiNS_17integral_constantIiLi128EEEEEELb0EEENSF_INS23_IiLi2EEEEEEEENS5_IJST_SU_SV_SW_SX_SY_SZ_S10_S11_S12_S13_S14_S15_NSS_IJLi15EEEES1C_NSS_IJLi16EEEEEEENS5_IJS17_SX_SY_SZ_S18_S19_S1A_S12_S13_S15_S14_S1B_S1C_NSS_IJLi18EEEENSS_IJLi19ELi20EEEENSS_IJLi21EEEEEEENSS_IJLi18ELi19ELi20ELi21EEEElEENSB_INS5_IJSQ_SO_SO_SQ_SG_SG_S26_S28_EEENS5_IJST_SU_SV_SX_SW_SY_S18_SZ_EEENS5_IJS1I_SW_SX_S1J_S18_NSS_IJLi8EEEENSS_IJLi9ELi10EEEES12_EEENSS_IJLi8ELi9ELi10ELi11EEEElEENS5_IJNSB_INS5_IJSK_SO_SO_NSP_INS5_IJiS27_NS23_IiLi64EEEEEELb0EEES2S_EEENS5_IJST_SU_SV_SW_SX_EEENS5_IJS1I_SW_SX_NSS_IJLi5ELi6ELi7EEEENSS_IJLi8ELi9ELi10EEEEEEENSS_IJLi5ELi6ELi7ELi8ELi9ELi10EEEElEEEEES2Z_NS_31BlockToCTileMap_M00_N00_M01_N01ILi128ELi128ES1R_Lb0EEENS1_30ComputePtrOffsetOfStridedBatchILi1ELi1ELi1EvEELb0ELb1EEEvPKT0_S37_T1_PT2_T3_T4_T5_iT6_T7_T8_T9_T10_T11_,comdat
	.globl	_ZN2ck16tensor_operation6device12_GLOBAL__N_137kernel_grouped_conv_fwd_dl_multiple_dINS_32GridwiseGemmDlMultipleD_km_kn_mnILi256EDF16_fNS_5TupleIJDF16_EEEDF16_NS0_12element_wise11PassThroughES8_NS7_7AddReluELNS_25InMemoryDataOperationEnumE0ENS_16TensorDescriptorINS5_IJNS_5EmbedINS5_IJiiiEEESD_Lb0EEENS_11PassThroughIiEENS_3PadIiiiLb0EEESG_SG_NSC_INS5_IJiiEEESJ_Lb0EEESG_NS_23Merge_v2_magic_divisionISJ_EESM_NS_8RightPadIiiLb0EEESO_NS_7UnMergeISJ_Lb0EEESG_EEENS5_IJNS_8SequenceIJLi0EEEENSS_IJLi1EEEENSS_IJLi2EEEENSS_IJLi3EEEENSS_IJLi4EEEENSS_IJLi5EEEENSS_IJLi6EEEENSS_IJLi7ELi9EEEENSS_IJLi8ELi10EEEENSS_IJLi11EEEENSS_IJLi12EEEENSS_IJLi14EEEENSS_IJLi13EEEEEEENS5_IJNSS_IJLi1ELi2ELi3EEEESX_SY_SZ_NSS_IJLi7EEEENSS_IJLi8ELi9EEEENSS_IJLi10EEEES12_S13_S15_S14_NSS_IJLi15ELi16EEEENSS_IJLi17EEEEEEENSS_IJLi15ELi17ELi16EEEElEENSB_INS5_IJSQ_SO_SO_SQ_SG_EEENS5_IJST_SU_SV_SX_SW_EEENS5_IJNSS_IJLi1ELi2EEEESW_SX_NSS_IJLi5ELi6EEEES18_EEENSS_IJLi5ELi7ELi6EEEElEENSB_INS5_IJSK_SO_SO_EEENS5_IJST_SU_SV_EEENS5_IJS1I_SW_SX_EEENSS_IJLi3ELi4EEEElEELi128ELi128ELi16ELi2ELi4ELi4ELi1ENSS_IJLi8ELi2EEEES1S_NSS_IJLi8ELi1ELi1ELi2EEEENSS_IJLi2ELi1ELi128ELi1EEEENSS_IJLi1ELi2ELi0ELi3EEEES1V_NSS_IJLi4ELi1ELi1ELi2EEEES1V_NSS_IJLi1ELi1ELi1ELi2EEEES1T_S1U_S1V_S1V_S1W_S1V_S1X_NSS_IJLi0ELi1ELi2ELi3ELi4ELi5EEEELi5ELi4EEEDF16_NS5_IJPKDF16_EEEDF16_S8_S8_S9_NSB_INS5_IJSE_SG_SI_SG_SG_SK_SG_SM_SM_SO_SO_SQ_SG_SG_NSP_INS5_IJiNS_17integral_constantIiLi128EEEEEELb0EEENSF_INS23_IiLi2EEEEEEEENS5_IJST_SU_SV_SW_SX_SY_SZ_S10_S11_S12_S13_S14_S15_NSS_IJLi15EEEES1C_NSS_IJLi16EEEEEEENS5_IJS17_SX_SY_SZ_S18_S19_S1A_S12_S13_S15_S14_S1B_S1C_NSS_IJLi18EEEENSS_IJLi19ELi20EEEENSS_IJLi21EEEEEEENSS_IJLi18ELi19ELi20ELi21EEEElEENSB_INS5_IJSQ_SO_SO_SQ_SG_SG_S26_S28_EEENS5_IJST_SU_SV_SX_SW_SY_S18_SZ_EEENS5_IJS1I_SW_SX_S1J_S18_NSS_IJLi8EEEENSS_IJLi9ELi10EEEES12_EEENSS_IJLi8ELi9ELi10ELi11EEEElEENS5_IJNSB_INS5_IJSK_SO_SO_NSP_INS5_IJiS27_NS23_IiLi64EEEEEELb0EEES2S_EEENS5_IJST_SU_SV_SW_SX_EEENS5_IJS1I_SW_SX_NSS_IJLi5ELi6ELi7EEEENSS_IJLi8ELi9ELi10EEEEEEENSS_IJLi5ELi6ELi7ELi8ELi9ELi10EEEElEEEEES2Z_NS_31BlockToCTileMap_M00_N00_M01_N01ILi128ELi128ES1R_Lb0EEENS1_30ComputePtrOffsetOfStridedBatchILi1ELi1ELi1EvEELb0ELb1EEEvPKT0_S37_T1_PT2_T3_T4_T5_iT6_T7_T8_T9_T10_T11_ ; -- Begin function _ZN2ck16tensor_operation6device12_GLOBAL__N_137kernel_grouped_conv_fwd_dl_multiple_dINS_32GridwiseGemmDlMultipleD_km_kn_mnILi256EDF16_fNS_5TupleIJDF16_EEEDF16_NS0_12element_wise11PassThroughES8_NS7_7AddReluELNS_25InMemoryDataOperationEnumE0ENS_16TensorDescriptorINS5_IJNS_5EmbedINS5_IJiiiEEESD_Lb0EEENS_11PassThroughIiEENS_3PadIiiiLb0EEESG_SG_NSC_INS5_IJiiEEESJ_Lb0EEESG_NS_23Merge_v2_magic_divisionISJ_EESM_NS_8RightPadIiiLb0EEESO_NS_7UnMergeISJ_Lb0EEESG_EEENS5_IJNS_8SequenceIJLi0EEEENSS_IJLi1EEEENSS_IJLi2EEEENSS_IJLi3EEEENSS_IJLi4EEEENSS_IJLi5EEEENSS_IJLi6EEEENSS_IJLi7ELi9EEEENSS_IJLi8ELi10EEEENSS_IJLi11EEEENSS_IJLi12EEEENSS_IJLi14EEEENSS_IJLi13EEEEEEENS5_IJNSS_IJLi1ELi2ELi3EEEESX_SY_SZ_NSS_IJLi7EEEENSS_IJLi8ELi9EEEENSS_IJLi10EEEES12_S13_S15_S14_NSS_IJLi15ELi16EEEENSS_IJLi17EEEEEEENSS_IJLi15ELi17ELi16EEEElEENSB_INS5_IJSQ_SO_SO_SQ_SG_EEENS5_IJST_SU_SV_SX_SW_EEENS5_IJNSS_IJLi1ELi2EEEESW_SX_NSS_IJLi5ELi6EEEES18_EEENSS_IJLi5ELi7ELi6EEEElEENSB_INS5_IJSK_SO_SO_EEENS5_IJST_SU_SV_EEENS5_IJS1I_SW_SX_EEENSS_IJLi3ELi4EEEElEELi128ELi128ELi16ELi2ELi4ELi4ELi1ENSS_IJLi8ELi2EEEES1S_NSS_IJLi8ELi1ELi1ELi2EEEENSS_IJLi2ELi1ELi128ELi1EEEENSS_IJLi1ELi2ELi0ELi3EEEES1V_NSS_IJLi4ELi1ELi1ELi2EEEES1V_NSS_IJLi1ELi1ELi1ELi2EEEES1T_S1U_S1V_S1V_S1W_S1V_S1X_NSS_IJLi0ELi1ELi2ELi3ELi4ELi5EEEELi5ELi4EEEDF16_NS5_IJPKDF16_EEEDF16_S8_S8_S9_NSB_INS5_IJSE_SG_SI_SG_SG_SK_SG_SM_SM_SO_SO_SQ_SG_SG_NSP_INS5_IJiNS_17integral_constantIiLi128EEEEEELb0EEENSF_INS23_IiLi2EEEEEEEENS5_IJST_SU_SV_SW_SX_SY_SZ_S10_S11_S12_S13_S14_S15_NSS_IJLi15EEEES1C_NSS_IJLi16EEEEEEENS5_IJS17_SX_SY_SZ_S18_S19_S1A_S12_S13_S15_S14_S1B_S1C_NSS_IJLi18EEEENSS_IJLi19ELi20EEEENSS_IJLi21EEEEEEENSS_IJLi18ELi19ELi20ELi21EEEElEENSB_INS5_IJSQ_SO_SO_SQ_SG_SG_S26_S28_EEENS5_IJST_SU_SV_SX_SW_SY_S18_SZ_EEENS5_IJS1I_SW_SX_S1J_S18_NSS_IJLi8EEEENSS_IJLi9ELi10EEEES12_EEENSS_IJLi8ELi9ELi10ELi11EEEElEENS5_IJNSB_INS5_IJSK_SO_SO_NSP_INS5_IJiS27_NS23_IiLi64EEEEEELb0EEES2S_EEENS5_IJST_SU_SV_SW_SX_EEENS5_IJS1I_SW_SX_NSS_IJLi5ELi6ELi7EEEENSS_IJLi8ELi9ELi10EEEEEEENSS_IJLi5ELi6ELi7ELi8ELi9ELi10EEEElEEEEES2Z_NS_31BlockToCTileMap_M00_N00_M01_N01ILi128ELi128ES1R_Lb0EEENS1_30ComputePtrOffsetOfStridedBatchILi1ELi1ELi1EvEELb0ELb1EEEvPKT0_S37_T1_PT2_T3_T4_T5_iT6_T7_T8_T9_T10_T11_
	.p2align	8
	.type	_ZN2ck16tensor_operation6device12_GLOBAL__N_137kernel_grouped_conv_fwd_dl_multiple_dINS_32GridwiseGemmDlMultipleD_km_kn_mnILi256EDF16_fNS_5TupleIJDF16_EEEDF16_NS0_12element_wise11PassThroughES8_NS7_7AddReluELNS_25InMemoryDataOperationEnumE0ENS_16TensorDescriptorINS5_IJNS_5EmbedINS5_IJiiiEEESD_Lb0EEENS_11PassThroughIiEENS_3PadIiiiLb0EEESG_SG_NSC_INS5_IJiiEEESJ_Lb0EEESG_NS_23Merge_v2_magic_divisionISJ_EESM_NS_8RightPadIiiLb0EEESO_NS_7UnMergeISJ_Lb0EEESG_EEENS5_IJNS_8SequenceIJLi0EEEENSS_IJLi1EEEENSS_IJLi2EEEENSS_IJLi3EEEENSS_IJLi4EEEENSS_IJLi5EEEENSS_IJLi6EEEENSS_IJLi7ELi9EEEENSS_IJLi8ELi10EEEENSS_IJLi11EEEENSS_IJLi12EEEENSS_IJLi14EEEENSS_IJLi13EEEEEEENS5_IJNSS_IJLi1ELi2ELi3EEEESX_SY_SZ_NSS_IJLi7EEEENSS_IJLi8ELi9EEEENSS_IJLi10EEEES12_S13_S15_S14_NSS_IJLi15ELi16EEEENSS_IJLi17EEEEEEENSS_IJLi15ELi17ELi16EEEElEENSB_INS5_IJSQ_SO_SO_SQ_SG_EEENS5_IJST_SU_SV_SX_SW_EEENS5_IJNSS_IJLi1ELi2EEEESW_SX_NSS_IJLi5ELi6EEEES18_EEENSS_IJLi5ELi7ELi6EEEElEENSB_INS5_IJSK_SO_SO_EEENS5_IJST_SU_SV_EEENS5_IJS1I_SW_SX_EEENSS_IJLi3ELi4EEEElEELi128ELi128ELi16ELi2ELi4ELi4ELi1ENSS_IJLi8ELi2EEEES1S_NSS_IJLi8ELi1ELi1ELi2EEEENSS_IJLi2ELi1ELi128ELi1EEEENSS_IJLi1ELi2ELi0ELi3EEEES1V_NSS_IJLi4ELi1ELi1ELi2EEEES1V_NSS_IJLi1ELi1ELi1ELi2EEEES1T_S1U_S1V_S1V_S1W_S1V_S1X_NSS_IJLi0ELi1ELi2ELi3ELi4ELi5EEEELi5ELi4EEEDF16_NS5_IJPKDF16_EEEDF16_S8_S8_S9_NSB_INS5_IJSE_SG_SI_SG_SG_SK_SG_SM_SM_SO_SO_SQ_SG_SG_NSP_INS5_IJiNS_17integral_constantIiLi128EEEEEELb0EEENSF_INS23_IiLi2EEEEEEEENS5_IJST_SU_SV_SW_SX_SY_SZ_S10_S11_S12_S13_S14_S15_NSS_IJLi15EEEES1C_NSS_IJLi16EEEEEEENS5_IJS17_SX_SY_SZ_S18_S19_S1A_S12_S13_S15_S14_S1B_S1C_NSS_IJLi18EEEENSS_IJLi19ELi20EEEENSS_IJLi21EEEEEEENSS_IJLi18ELi19ELi20ELi21EEEElEENSB_INS5_IJSQ_SO_SO_SQ_SG_SG_S26_S28_EEENS5_IJST_SU_SV_SX_SW_SY_S18_SZ_EEENS5_IJS1I_SW_SX_S1J_S18_NSS_IJLi8EEEENSS_IJLi9ELi10EEEES12_EEENSS_IJLi8ELi9ELi10ELi11EEEElEENS5_IJNSB_INS5_IJSK_SO_SO_NSP_INS5_IJiS27_NS23_IiLi64EEEEEELb0EEES2S_EEENS5_IJST_SU_SV_SW_SX_EEENS5_IJS1I_SW_SX_NSS_IJLi5ELi6ELi7EEEENSS_IJLi8ELi9ELi10EEEEEEENSS_IJLi5ELi6ELi7ELi8ELi9ELi10EEEElEEEEES2Z_NS_31BlockToCTileMap_M00_N00_M01_N01ILi128ELi128ES1R_Lb0EEENS1_30ComputePtrOffsetOfStridedBatchILi1ELi1ELi1EvEELb0ELb1EEEvPKT0_S37_T1_PT2_T3_T4_T5_iT6_T7_T8_T9_T10_T11_,@function
_ZN2ck16tensor_operation6device12_GLOBAL__N_137kernel_grouped_conv_fwd_dl_multiple_dINS_32GridwiseGemmDlMultipleD_km_kn_mnILi256EDF16_fNS_5TupleIJDF16_EEEDF16_NS0_12element_wise11PassThroughES8_NS7_7AddReluELNS_25InMemoryDataOperationEnumE0ENS_16TensorDescriptorINS5_IJNS_5EmbedINS5_IJiiiEEESD_Lb0EEENS_11PassThroughIiEENS_3PadIiiiLb0EEESG_SG_NSC_INS5_IJiiEEESJ_Lb0EEESG_NS_23Merge_v2_magic_divisionISJ_EESM_NS_8RightPadIiiLb0EEESO_NS_7UnMergeISJ_Lb0EEESG_EEENS5_IJNS_8SequenceIJLi0EEEENSS_IJLi1EEEENSS_IJLi2EEEENSS_IJLi3EEEENSS_IJLi4EEEENSS_IJLi5EEEENSS_IJLi6EEEENSS_IJLi7ELi9EEEENSS_IJLi8ELi10EEEENSS_IJLi11EEEENSS_IJLi12EEEENSS_IJLi14EEEENSS_IJLi13EEEEEEENS5_IJNSS_IJLi1ELi2ELi3EEEESX_SY_SZ_NSS_IJLi7EEEENSS_IJLi8ELi9EEEENSS_IJLi10EEEES12_S13_S15_S14_NSS_IJLi15ELi16EEEENSS_IJLi17EEEEEEENSS_IJLi15ELi17ELi16EEEElEENSB_INS5_IJSQ_SO_SO_SQ_SG_EEENS5_IJST_SU_SV_SX_SW_EEENS5_IJNSS_IJLi1ELi2EEEESW_SX_NSS_IJLi5ELi6EEEES18_EEENSS_IJLi5ELi7ELi6EEEElEENSB_INS5_IJSK_SO_SO_EEENS5_IJST_SU_SV_EEENS5_IJS1I_SW_SX_EEENSS_IJLi3ELi4EEEElEELi128ELi128ELi16ELi2ELi4ELi4ELi1ENSS_IJLi8ELi2EEEES1S_NSS_IJLi8ELi1ELi1ELi2EEEENSS_IJLi2ELi1ELi128ELi1EEEENSS_IJLi1ELi2ELi0ELi3EEEES1V_NSS_IJLi4ELi1ELi1ELi2EEEES1V_NSS_IJLi1ELi1ELi1ELi2EEEES1T_S1U_S1V_S1V_S1W_S1V_S1X_NSS_IJLi0ELi1ELi2ELi3ELi4ELi5EEEELi5ELi4EEEDF16_NS5_IJPKDF16_EEEDF16_S8_S8_S9_NSB_INS5_IJSE_SG_SI_SG_SG_SK_SG_SM_SM_SO_SO_SQ_SG_SG_NSP_INS5_IJiNS_17integral_constantIiLi128EEEEEELb0EEENSF_INS23_IiLi2EEEEEEEENS5_IJST_SU_SV_SW_SX_SY_SZ_S10_S11_S12_S13_S14_S15_NSS_IJLi15EEEES1C_NSS_IJLi16EEEEEEENS5_IJS17_SX_SY_SZ_S18_S19_S1A_S12_S13_S15_S14_S1B_S1C_NSS_IJLi18EEEENSS_IJLi19ELi20EEEENSS_IJLi21EEEEEEENSS_IJLi18ELi19ELi20ELi21EEEElEENSB_INS5_IJSQ_SO_SO_SQ_SG_SG_S26_S28_EEENS5_IJST_SU_SV_SX_SW_SY_S18_SZ_EEENS5_IJS1I_SW_SX_S1J_S18_NSS_IJLi8EEEENSS_IJLi9ELi10EEEES12_EEENSS_IJLi8ELi9ELi10ELi11EEEElEENS5_IJNSB_INS5_IJSK_SO_SO_NSP_INS5_IJiS27_NS23_IiLi64EEEEEELb0EEES2S_EEENS5_IJST_SU_SV_SW_SX_EEENS5_IJS1I_SW_SX_NSS_IJLi5ELi6ELi7EEEENSS_IJLi8ELi9ELi10EEEEEEENSS_IJLi5ELi6ELi7ELi8ELi9ELi10EEEElEEEEES2Z_NS_31BlockToCTileMap_M00_N00_M01_N01ILi128ELi128ES1R_Lb0EEENS1_30ComputePtrOffsetOfStridedBatchILi1ELi1ELi1EvEELb0ELb1EEEvPKT0_S37_T1_PT2_T3_T4_T5_iT6_T7_T8_T9_T10_T11_: ; @_ZN2ck16tensor_operation6device12_GLOBAL__N_137kernel_grouped_conv_fwd_dl_multiple_dINS_32GridwiseGemmDlMultipleD_km_kn_mnILi256EDF16_fNS_5TupleIJDF16_EEEDF16_NS0_12element_wise11PassThroughES8_NS7_7AddReluELNS_25InMemoryDataOperationEnumE0ENS_16TensorDescriptorINS5_IJNS_5EmbedINS5_IJiiiEEESD_Lb0EEENS_11PassThroughIiEENS_3PadIiiiLb0EEESG_SG_NSC_INS5_IJiiEEESJ_Lb0EEESG_NS_23Merge_v2_magic_divisionISJ_EESM_NS_8RightPadIiiLb0EEESO_NS_7UnMergeISJ_Lb0EEESG_EEENS5_IJNS_8SequenceIJLi0EEEENSS_IJLi1EEEENSS_IJLi2EEEENSS_IJLi3EEEENSS_IJLi4EEEENSS_IJLi5EEEENSS_IJLi6EEEENSS_IJLi7ELi9EEEENSS_IJLi8ELi10EEEENSS_IJLi11EEEENSS_IJLi12EEEENSS_IJLi14EEEENSS_IJLi13EEEEEEENS5_IJNSS_IJLi1ELi2ELi3EEEESX_SY_SZ_NSS_IJLi7EEEENSS_IJLi8ELi9EEEENSS_IJLi10EEEES12_S13_S15_S14_NSS_IJLi15ELi16EEEENSS_IJLi17EEEEEEENSS_IJLi15ELi17ELi16EEEElEENSB_INS5_IJSQ_SO_SO_SQ_SG_EEENS5_IJST_SU_SV_SX_SW_EEENS5_IJNSS_IJLi1ELi2EEEESW_SX_NSS_IJLi5ELi6EEEES18_EEENSS_IJLi5ELi7ELi6EEEElEENSB_INS5_IJSK_SO_SO_EEENS5_IJST_SU_SV_EEENS5_IJS1I_SW_SX_EEENSS_IJLi3ELi4EEEElEELi128ELi128ELi16ELi2ELi4ELi4ELi1ENSS_IJLi8ELi2EEEES1S_NSS_IJLi8ELi1ELi1ELi2EEEENSS_IJLi2ELi1ELi128ELi1EEEENSS_IJLi1ELi2ELi0ELi3EEEES1V_NSS_IJLi4ELi1ELi1ELi2EEEES1V_NSS_IJLi1ELi1ELi1ELi2EEEES1T_S1U_S1V_S1V_S1W_S1V_S1X_NSS_IJLi0ELi1ELi2ELi3ELi4ELi5EEEELi5ELi4EEEDF16_NS5_IJPKDF16_EEEDF16_S8_S8_S9_NSB_INS5_IJSE_SG_SI_SG_SG_SK_SG_SM_SM_SO_SO_SQ_SG_SG_NSP_INS5_IJiNS_17integral_constantIiLi128EEEEEELb0EEENSF_INS23_IiLi2EEEEEEEENS5_IJST_SU_SV_SW_SX_SY_SZ_S10_S11_S12_S13_S14_S15_NSS_IJLi15EEEES1C_NSS_IJLi16EEEEEEENS5_IJS17_SX_SY_SZ_S18_S19_S1A_S12_S13_S15_S14_S1B_S1C_NSS_IJLi18EEEENSS_IJLi19ELi20EEEENSS_IJLi21EEEEEEENSS_IJLi18ELi19ELi20ELi21EEEElEENSB_INS5_IJSQ_SO_SO_SQ_SG_SG_S26_S28_EEENS5_IJST_SU_SV_SX_SW_SY_S18_SZ_EEENS5_IJS1I_SW_SX_S1J_S18_NSS_IJLi8EEEENSS_IJLi9ELi10EEEES12_EEENSS_IJLi8ELi9ELi10ELi11EEEElEENS5_IJNSB_INS5_IJSK_SO_SO_NSP_INS5_IJiS27_NS23_IiLi64EEEEEELb0EEES2S_EEENS5_IJST_SU_SV_SW_SX_EEENS5_IJS1I_SW_SX_NSS_IJLi5ELi6ELi7EEEENSS_IJLi8ELi9ELi10EEEEEEENSS_IJLi5ELi6ELi7ELi8ELi9ELi10EEEElEEEEES2Z_NS_31BlockToCTileMap_M00_N00_M01_N01ILi128ELi128ES1R_Lb0EEENS1_30ComputePtrOffsetOfStridedBatchILi1ELi1ELi1EvEELb0ELb1EEEvPKT0_S37_T1_PT2_T3_T4_T5_iT6_T7_T8_T9_T10_T11_
; %bb.0:
	s_clause 0x4
	s_load_dword s0, s[4:5], 0x24
	s_load_dwordx4 s[40:43], s[4:5], 0x234
	s_load_dword s45, s[4:5], 0xc4
	s_load_dword s2, s[4:5], 0x288
	s_load_dwordx4 s[36:39], s[4:5], 0x248
	v_lshrrev_b32_e32 v33, 1, v0
	v_lshrrev_b32_e32 v81, 5, v0
	v_lshlrev_b32_e32 v82, 1, v0
	v_mov_b32_e32 v24, 0
	v_mov_b32_e32 v70, 0
	v_lshlrev_b32_e32 v100, 2, v33
	v_lshlrev_b32_e32 v84, 6, v81
	;; [unrolled: 1-line block ×3, first 2 shown]
	v_and_b32_e32 v98, 0x1f8, v82
	v_mov_b32_e32 v71, 0
	v_mov_b32_e32 v46, 0
	;; [unrolled: 1-line block ×4, first 2 shown]
	v_sub_nc_u32_e32 v98, v98, v84
	v_mov_b32_e32 v66, 0
	s_waitcnt lgkmcnt(0)
	s_abs_i32 s1, s0
	v_mov_b32_e32 v40, 0
	v_cvt_f32_u32_e32 v1, s1
	s_sub_i32 s7, 0, s1
	s_abs_i32 s8, s2
	s_xor_b32 s0, s2, s0
	v_mov_b32_e32 v41, 0
	v_rcp_iflag_f32_e32 v1, v1
	s_ashr_i32 s0, s0, 31
	v_mov_b32_e32 v58, 0
	v_mov_b32_e32 v59, 0
	v_mov_b32_e32 v37, 0
	v_mov_b32_e32 v38, 0
	v_mov_b32_e32 v53, 0
	v_mov_b32_e32 v54, 0
	v_mov_b32_e32 v28, 0
	v_mov_b32_e32 v30, 0
	v_mul_f32_e32 v1, 0x4f7ffffe, v1
	v_mov_b32_e32 v79, 0
	v_mov_b32_e32 v76, 0
	;; [unrolled: 1-line block ×4, first 2 shown]
	v_cvt_u32_f32_e32 v1, v1
	v_mov_b32_e32 v78, 0
	v_mov_b32_e32 v75, 0
	;; [unrolled: 1-line block ×4, first 2 shown]
	v_readfirstlane_b32 s3, v1
	v_mov_b32_e32 v73, 0
	v_mov_b32_e32 v68, 0
	;; [unrolled: 1-line block ×4, first 2 shown]
	s_mul_i32 s7, s7, s3
	v_mov_b32_e32 v67, 0
	s_mul_hi_u32 s7, s3, s7
	v_mov_b32_e32 v60, 0
	s_add_i32 s3, s3, s7
	v_mov_b32_e32 v34, 0
	s_mul_hi_u32 s3, s8, s3
	v_mov_b32_e32 v35, 0
	s_mul_i32 s2, s3, s1
	s_add_i32 s7, s3, 1
	s_sub_i32 s2, s8, s2
	v_mov_b32_e32 v61, 0
	s_sub_i32 s8, s2, s1
	s_cmp_ge_u32 s2, s1
	v_mov_b32_e32 v62, 0
	s_cselect_b32 s3, s7, s3
	s_cselect_b32 s2, s8, s2
	s_add_i32 s7, s3, 1
	s_cmp_ge_u32 s2, s1
	s_load_dwordx8 s[8:15], s[4:5], 0x260
	s_cselect_b32 s1, s7, s3
	s_abs_i32 s7, s6
	s_xor_b32 s1, s1, s0
	v_mov_b32_e32 v17, 0
	s_sub_i32 s0, s1, s0
	v_mov_b32_e32 v56, 0
	s_abs_i32 s1, s0
	s_xor_b32 s0, s6, s0
	v_cvt_f32_u32_e32 v1, s1
	s_sub_i32 s3, 0, s1
	s_ashr_i32 s0, s0, 31
	v_mov_b32_e32 v57, 0
	v_mov_b32_e32 v20, 0
	v_rcp_iflag_f32_e32 v1, v1
	v_mov_b32_e32 v21, 0
	v_mov_b32_e32 v50, 0
	;; [unrolled: 1-line block ×9, first 2 shown]
	v_mul_f32_e32 v1, 0x4f7ffffe, v1
	v_mov_b32_e32 v77, 0
	v_mov_b32_e32 v74, 0
	;; [unrolled: 1-line block ×4, first 2 shown]
	v_cvt_u32_f32_e32 v1, v1
	v_mov_b32_e32 v72, 0
	v_mov_b32_e32 v69, 0
	;; [unrolled: 1-line block ×4, first 2 shown]
	v_readfirstlane_b32 s2, v1
	v_lshlrev_b32_e32 v1, 3, v0
	v_lshlrev_b32_e32 v0, 2, v0
	v_mov_b32_e32 v63, 0
	v_mov_b32_e32 v64, 0
	s_mul_i32 s3, s3, s2
	v_and_b32_e32 v80, 8, v1
	s_mul_hi_u32 s3, s2, s3
	v_mov_b32_e32 v29, 0
	s_add_i32 s2, s2, s3
	v_mov_b32_e32 v55, 0
	s_mul_hi_u32 s2, s7, s2
	v_mul_lo_u32 v89, s45, v80
	s_mul_i32 s3, s2, s1
	v_or_b32_e32 v27, 16, v80
	s_sub_i32 s3, s7, s3
	s_add_i32 s7, s2, 1
	s_sub_i32 s16, s3, s1
	s_cmp_ge_u32 s3, s1
	v_mul_lo_u32 v97, s45, v27
	s_cselect_b32 s2, s7, s2
	s_cselect_b32 s3, s16, s3
	s_load_dwordx8 s[16:23], s[4:5], 0x0
	s_add_i32 s7, s2, 1
	s_cmp_ge_u32 s3, s1
	v_lshl_or_b32 v84, v80, 9, v100
	s_cselect_b32 s1, s7, s2
	v_mov_b32_e32 v27, 0
	s_xor_b32 s1, s1, s0
	v_mov_b32_e32 v52, 0
	s_sub_i32 s7, s1, s0
	s_ashr_i32 s1, s7, 31
	s_waitcnt lgkmcnt(0)
	s_mul_hi_u32 s3, s8, s7
	s_mul_i32 s0, s8, s7
	s_mul_hi_u32 s24, s10, s7
	s_mul_hi_u32 s26, s12, s7
	s_mul_i32 s8, s8, s1
	s_mul_i32 s27, s10, s1
	;; [unrolled: 1-line block ×6, first 2 shown]
	s_add_i32 s3, s3, s8
	s_add_i32 s8, s24, s27
	s_add_i32 s24, s26, s1
	s_mul_hi_u32 s25, s14, s7
	s_mul_i32 s2, s12, s7
	s_add_i32 s1, s3, s9
	s_add_i32 s3, s24, s13
	s_mul_i32 s11, s11, s7
	s_mul_i32 s15, s15, s7
	s_add_i32 s12, s25, s28
	s_lshl_b64 s[2:3], s[2:3], 1
	s_add_i32 s9, s8, s11
	s_add_i32 s11, s12, s15
	s_add_u32 s24, s20, s2
	s_addc_u32 s25, s21, s3
	s_lshl_b64 s[0:1], s[0:1], 1
	s_mul_i32 s8, s10, s7
	s_add_u32 s20, s16, s0
	s_addc_u32 s21, s17, s1
	s_lshl_b64 s[0:1], s[8:9], 1
	s_mul_i32 s10, s14, s7
	s_add_u32 s28, s18, s0
	s_addc_u32 s29, s19, s1
	s_lshl_b64 s[0:1], s[10:11], 1
	s_mul_hi_u32 s2, s43, s6
	s_add_u32 s16, s22, s0
	s_addc_u32 s17, s23, s1
	s_add_i32 s0, s6, s2
	s_load_dword s8, s[4:5], 0x204
	s_lshr_b32 s22, s0, s39
	s_load_dwordx4 s[0:3], s[4:5], 0x220
	s_mul_hi_u32 s7, s22, s42
	s_mov_b32 s23, 0x31014000
	s_add_i32 s7, s22, s7
	s_mov_b32 s31, s23
	s_lshr_b32 s30, s7, s38
	s_clause 0x2
	s_load_dword s10, s[4:5], 0x78
	s_load_dword s44, s[4:5], 0x94
	;; [unrolled: 1-line block ×3, first 2 shown]
	s_mul_hi_u32 s9, s30, s41
	s_clause 0x4
	s_load_dword s34, s[4:5], 0xe8
	s_load_dword s35, s[4:5], 0xf8
	;; [unrolled: 1-line block ×5, first 2 shown]
	s_add_i32 s9, s30, s9
	s_and_b32 s29, s29, 0xffff
	s_lshr_b32 s33, s9, s37
	s_and_b32 s21, s21, 0xffff
	s_mul_hi_u32 s9, s33, s40
	s_load_dword s40, s[4:5], 0x214
	s_add_i32 s9, s33, s9
	s_and_b32 s25, s25, 0xffff
	s_lshr_b32 s9, s9, s36
	s_and_b32 s17, s17, 0xffff
	s_waitcnt lgkmcnt(0)
	s_mul_i32 s9, s9, s0
	s_mul_i32 s0, s30, s2
	s_sub_i32 s2, s33, s9
	s_sub_i32 s0, s22, s0
	s_mul_i32 s2, s2, s8
	v_mul_hi_u32 v1, v89, s44
	s_add_i32 s0, s0, s2
	s_lshl_b32 s2, s45, 2
	s_lshl_b32 s38, s0, 7
	s_clause 0x2
	s_load_dword s36, s[4:5], 0x80
	s_load_dword s0, s[4:5], 0x8c
	s_load_dwordx2 s[26:27], s[4:5], 0x60
	v_or_b32_e32 v91, s38, v33
	s_clause 0x1
	s_load_dword s47, s[4:5], 0x70
	s_load_dword s43, s[4:5], 0x48
	v_add_nc_u32_e32 v90, s2, v89
	v_add_nc_u32_e32 v1, v89, v1
	s_mul_i32 s33, s33, s1
	v_mul_hi_u32 v2, v91, s10
	s_mul_i32 s22, s22, s3
	v_mul_hi_u32 v4, v90, s44
	v_lshrrev_b32_e32 v3, s7, v1
	s_sub_i32 s1, s30, s33
	s_load_dwordx8 s[8:15], s[4:5], 0x34
	s_sub_i32 s3, s6, s22
	s_mul_i32 s1, s1, s40
	v_add_nc_u32_e32 v1, v91, v2
	s_add_i32 s3, s3, s1
	v_add_nc_u32_e32 v4, v90, v4
	v_mul_lo_u32 v13, s46, v80
	s_lshl_b32 s40, s3, 7
	s_waitcnt lgkmcnt(0)
	v_lshrrev_b32_e32 v5, s36, v1
	v_mul_lo_u32 v2, v3, s0
	v_mul_lo_u32 v1, v3, s26
	v_lshrrev_b32_e32 v92, s7, v4
	s_clause 0x4
	s_load_dword s11, s[4:5], 0x148
	s_load_dwordx2 s[18:19], s[4:5], 0x158
	s_load_dword s15, s[4:5], 0x164
	s_load_dword s37, s[4:5], 0x170
	;; [unrolled: 1-line block ×3, first 2 shown]
	v_mul_lo_u32 v6, v5, s47
	v_or_b32_e32 v93, s40, v33
	s_lshl_b32 s22, s34, 1
	v_sub_nc_u32_e32 v3, v92, v3
	v_sub_nc_u32_e32 v4, v89, v2
	v_mul_hi_u32 v83, v97, s44
	v_add_nc_u32_e32 v99, s2, v97
	v_mul_lo_u32 v5, v5, s8
	v_sub_nc_u32_e32 v2, v91, v6
	v_mul_lo_u32 v6, v92, s0
	v_mul_lo_u32 v7, v4, s10
	;; [unrolled: 1-line block ×3, first 2 shown]
	s_sub_i32 s12, s12, s14
	v_mad_u64_u32 v[14:15], null, v2, s27, v[1:2]
	s_waitcnt lgkmcnt(0)
	s_lshl_b32 s30, s11, 1
	s_lshl_b32 s11, s46, 2
	v_sub_nc_u32_e32 v15, v90, v6
	v_add_nc_u32_e32 v101, v97, v83
	v_mul_lo_u32 v9, v95, s9
	v_and_or_b32 v83, v82, 4, v81
	v_mad_u64_u32 v[1:2], null, v93, s35, v[13:14]
	v_subrev_nc_u32_e32 v2, s43, v14
	v_sub_nc_u32_e32 v3, v15, v4
	v_mul_hi_u32 v81, v99, s44
	v_lshrrev_b32_e32 v101, s7, v101
	v_and_or_b32 v82, v0, 4, v98
	v_mul_lo_u32 v6, v2, s9
	v_lshlrev_b32_e32 v4, 1, v1
	v_add_nc_u32_e32 v94, s11, v1
	v_mul_lo_u32 v10, v3, s10
	v_mul_lo_u32 v0, v101, s0
	v_add_nc_u32_e32 v98, v99, v81
	buffer_load_dwordx4 v[1:4], v4, s[28:31], 0 offen
	v_lshlrev_b32_e32 v8, 1, v94
	v_add3_u32 v11, v5, v7, v6
	s_mul_i32 s46, s46, 12
	v_sub_nc_u32_e32 v92, v101, v92
	v_lshlrev_b32_e32 v80, 2, v83
	buffer_load_dwordx4 v[5:8], v8, s[28:31], 0 offen
	v_add3_u32 v96, v10, v9, v11
	v_lshlrev_b32_e32 v9, 1, v11
	v_sub_nc_u32_e32 v0, v97, v0
	v_lshlrev_b32_e32 v81, 2, v82
	v_mov_b32_e32 v33, 0
	v_lshlrev_b32_e32 v16, 1, v96
	s_clause 0x1
	buffer_load_dwordx4 v[9:12], v9, s[20:23], 0 offen
	buffer_load_dwordx4 v[85:88], v16, s[20:23], 0 offen
	s_clause 0x5
	s_load_dword s27, s[4:5], 0xa8
	s_load_dword s1, s[4:5], 0xb4
	s_load_dwordx2 s[34:35], s[4:5], 0x1a8
	s_load_dword s13, s[4:5], 0x1b4
	s_load_dword s33, s[4:5], 0x1c0
	;; [unrolled: 1-line block ×3, first 2 shown]
	v_cmp_gt_i32_e64 s4, s42, v13
	v_mov_b32_e32 v16, 0
	v_or_b32_e32 v83, s38, v83
	v_add_nc_u32_e32 v82, s40, v82
	s_waitcnt lgkmcnt(0)
	v_cmp_gt_i32_e64 s2, s27, v91
	v_cmp_gt_i32_e64 s3, s1, v89
	v_add_nc_u32_e32 v89, s11, v13
	v_lshrrev_b32_e32 v13, s7, v98
	v_cmp_gt_i32_e64 s5, s1, v97
	v_cmp_gt_i32_e64 s6, s1, v90
	v_add_nc_u32_e32 v91, s46, v94
	v_add_nc_u32_e32 v97, s46, v89
	v_sub_nc_u32_e32 v98, v13, v101
	v_cmp_gt_i32_e64 s7, s42, v89
	v_cmp_gt_i32_e64 s8, s1, v99
	s_mov_b32 s27, s23
	v_add_nc_u32_e32 v100, s11, v97
	v_mul_lo_u32 v98, v98, s26
	v_cmp_gt_i32_e64 s1, s42, v97
	v_cmp_gt_i32_e32 vcc_lo, s42, v100
	s_waitcnt vmcnt(3)
	v_mad_u64_u32 v[89:90], null, v13, s0, v[0:1]
	v_mul_lo_u32 v13, v98, s9
	v_mul_lo_u32 v90, v92, s26
	v_sub_nc_u32_e32 v0, v0, v15
	v_cmp_gt_i32_e64 s0, s41, v93
	s_lshl_b32 s26, s39, 1
	v_sub_nc_u32_e32 v15, v99, v89
	v_mul_lo_u32 v0, v0, s10
	s_and_b32 s1, s1, s0
	v_mul_lo_u32 v89, v90, s9
	v_cmp_gt_i32_e64 s9, s12, v14
	v_mad_u64_u32 v[93:94], null, v15, s10, v[13:14]
	v_add_nc_u32_e32 v13, v14, v95
	v_add_lshl_u32 v95, v91, s11, 1
	v_cmp_le_i32_e64 s10, s43, v14
	s_and_b32 s9, s9, s3
	v_add3_u32 v0, v0, v89, v96
	v_cmp_gt_i32_e64 s11, s12, v13
	v_cmp_le_i32_e64 s3, s43, v13
	s_and_b32 s9, s9, s10
	v_add_nc_u32_e32 v14, v13, v90
	v_lshlrev_b32_e32 v94, 1, v91
	s_and_b32 s10, s11, s6
	s_and_b32 vcc_lo, vcc_lo, s0
	s_and_b32 s10, s10, s3
	s_and_b32 s3, s4, s0
	v_cmp_gt_i32_e64 s6, s12, v14
	v_cndmask_b32_e64 v4, 0, v4, s3
	v_cndmask_b32_e64 v3, 0, v3, s3
	;; [unrolled: 1-line block ×4, first 2 shown]
	s_and_b32 s3, s7, s0
	v_add_nc_u32_e32 v13, v14, v98
	s_waitcnt vmcnt(2)
	v_cndmask_b32_e64 v6, 0, v6, s3
	v_cndmask_b32_e64 v5, 0, v5, s3
	;; [unrolled: 1-line block ×4, first 2 shown]
	s_and_b32 s3, s2, s9
	ds_write2st64_b32 v84, v1, v2 offset0:64 offset1:66
	ds_write2st64_b32 v84, v3, v4 offset0:68 offset1:70
	;; [unrolled: 1-line block ×3, first 2 shown]
	s_waitcnt vmcnt(1)
	v_cndmask_b32_e64 v1, 0, v12, s3
	v_cndmask_b32_e64 v2, 0, v11, s3
	;; [unrolled: 1-line block ×4, first 2 shown]
	s_and_b32 s3, s2, s10
	v_cmp_gt_i32_e64 s4, s12, v13
	s_waitcnt vmcnt(0)
	v_cndmask_b32_e64 v6, 0, v86, s3
	v_cndmask_b32_e64 v9, 0, v85, s3
	;; [unrolled: 1-line block ×4, first 2 shown]
	ds_write2st64_b32 v84, v7, v8 offset0:76 offset1:78
	ds_write2st64_b32 v84, v4, v3 offset1:2
	ds_write2st64_b32 v84, v2, v1 offset0:4 offset1:6
	ds_write2st64_b32 v84, v9, v6 offset0:8 offset1:10
	;; [unrolled: 1-line block ×3, first 2 shown]
	v_lshlrev_b32_e32 v1, 1, v0
	v_add_lshl_u32 v0, v93, v0, 1
	s_waitcnt lgkmcnt(0)
	s_barrier
	ds_read_b128 v[85:88], v80
	ds_read_b128 v[89:92], v81 offset:16384
	v_cmp_le_i32_e64 s3, s43, v14
	s_and_b32 s6, s6, s5
	v_cmp_le_i32_e64 s5, s43, v13
	s_clause 0x1
	buffer_load_dwordx4 v[12:15], v1, s[20:23], 0 offen
	buffer_load_dwordx4 v[8:11], v0, s[20:23], 0 offen
	s_clause 0x1
	buffer_load_dwordx4 v[4:7], v94, s[28:31], 0 offen
	buffer_load_dwordx4 v[0:3], v95, s[28:31], 0 offen
	ds_read_b128 v[93:96], v81 offset:16640
	ds_read_b128 v[97:100], v80 offset:256
	;; [unrolled: 1-line block ×6, first 2 shown]
	s_and_b32 s4, s4, s8
	s_and_b32 s3, s6, s3
	;; [unrolled: 1-line block ×5, first 2 shown]
	s_lshl_b32 s0, s19, 6
	s_waitcnt lgkmcnt(6)
	v_dot2c_f32_f16 v70, v85, v89
	v_dot2c_f32_f16 v71, v85, v90
	;; [unrolled: 1-line block ×16, first 2 shown]
	s_waitcnt lgkmcnt(5)
	v_dot2c_f32_f16 v79, v85, v93
	v_dot2c_f32_f16 v76, v85, v94
	v_dot2c_f32_f16 v44, v85, v95
	v_dot2c_f32_f16 v45, v85, v96
	v_dot2c_f32_f16 v78, v86, v93
	v_dot2c_f32_f16 v75, v86, v94
	v_dot2c_f32_f16 v42, v86, v95
	v_dot2c_f32_f16 v43, v86, v96
	v_dot2c_f32_f16 v73, v87, v93
	v_dot2c_f32_f16 v68, v87, v94
	v_dot2c_f32_f16 v36, v87, v95
	v_dot2c_f32_f16 v39, v87, v96
	v_dot2c_f32_f16 v67, v88, v93
	v_dot2c_f32_f16 v60, v88, v94
	v_dot2c_f32_f16 v34, v88, v95
	v_dot2c_f32_f16 v35, v88, v96
	ds_read_b128 v[85:88], v81 offset:17408
	ds_read_b128 v[117:120], v81 offset:17664
	s_waitcnt lgkmcnt(6)
	v_dot2c_f32_f16 v61, v97, v89
	v_dot2c_f32_f16 v62, v97, v90
	v_dot2c_f32_f16 v16, v97, v91
	v_dot2c_f32_f16 v17, v97, v92
	v_dot2c_f32_f16 v56, v98, v89
	v_dot2c_f32_f16 v57, v98, v90
	v_dot2c_f32_f16 v20, v98, v91
	v_dot2c_f32_f16 v21, v98, v92
	v_dot2c_f32_f16 v50, v99, v89
	v_dot2c_f32_f16 v51, v99, v90
	v_dot2c_f32_f16 v25, v99, v91
	v_dot2c_f32_f16 v26, v99, v92
	v_dot2c_f32_f16 v48, v100, v89
	v_dot2c_f32_f16 v49, v100, v90
	v_dot2c_f32_f16 v31, v100, v91
	v_dot2c_f32_f16 v32, v100, v92
	v_dot2c_f32_f16 v77, v97, v93
	v_dot2c_f32_f16 v74, v97, v94
	v_dot2c_f32_f16 v18, v97, v95
	v_dot2c_f32_f16 v19, v97, v96
	v_dot2c_f32_f16 v72, v98, v93
	v_dot2c_f32_f16 v69, v98, v94
	v_dot2c_f32_f16 v22, v98, v95
	v_dot2c_f32_f16 v23, v98, v96
	v_dot2c_f32_f16 v63, v99, v93
	v_dot2c_f32_f16 v64, v99, v94
	v_dot2c_f32_f16 v27, v99, v95
	v_dot2c_f32_f16 v29, v99, v96
	v_dot2c_f32_f16 v55, v100, v93
	v_dot2c_f32_f16 v52, v100, v94
	v_dot2c_f32_f16 v33, v100, v95
	v_dot2c_f32_f16 v24, v100, v96
	ds_read_b128 v[89:92], v80 offset:1024
	ds_read_b128 v[93:96], v80 offset:1280
	s_waitcnt lgkmcnt(5)
	v_dot2c_f32_f16 v70, v109, v101
	v_dot2c_f32_f16 v71, v109, v102
	v_dot2c_f32_f16 v46, v109, v103
	v_dot2c_f32_f16 v47, v109, v104
	v_dot2c_f32_f16 v65, v110, v101
	v_dot2c_f32_f16 v66, v110, v102
	v_dot2c_f32_f16 v40, v110, v103
	v_dot2c_f32_f16 v41, v110, v104
	v_dot2c_f32_f16 v58, v111, v101
	v_dot2c_f32_f16 v59, v111, v102
	v_dot2c_f32_f16 v37, v111, v103
	v_dot2c_f32_f16 v38, v111, v104
	v_dot2c_f32_f16 v53, v112, v101
	v_dot2c_f32_f16 v54, v112, v102
	v_dot2c_f32_f16 v28, v112, v103
	v_dot2c_f32_f16 v30, v112, v104
	;; [unrolled: 35-line block ×12, first 2 shown]
	s_waitcnt lgkmcnt(4)
	v_dot2c_f32_f16 v61, v93, v85
	v_dot2c_f32_f16 v62, v93, v86
	;; [unrolled: 1-line block ×48, first 2 shown]
	s_waitcnt lgkmcnt(1)
	v_dot2c_f32_f16 v70, v101, v97
	v_dot2c_f32_f16 v71, v101, v98
	;; [unrolled: 1-line block ×16, first 2 shown]
	ds_read_b128 v[85:88], v80 offset:4096
	s_waitcnt lgkmcnt(1)
	v_dot2c_f32_f16 v61, v105, v97
	v_dot2c_f32_f16 v62, v105, v98
	;; [unrolled: 1-line block ×15, first 2 shown]
	ds_read_b128 v[89:92], v81 offset:20480
	ds_read_b128 v[93:96], v81 offset:20736
	v_dot2c_f32_f16 v32, v108, v100
	ds_read_b128 v[97:100], v80 offset:4352
	v_dot2c_f32_f16 v79, v101, v113
	v_dot2c_f32_f16 v76, v101, v114
	;; [unrolled: 1-line block ×32, first 2 shown]
	s_waitcnt lgkmcnt(2)
	v_dot2c_f32_f16 v70, v85, v89
	v_dot2c_f32_f16 v71, v85, v90
	;; [unrolled: 1-line block ×16, first 2 shown]
	s_waitcnt lgkmcnt(1)
	v_dot2c_f32_f16 v79, v85, v93
	v_dot2c_f32_f16 v76, v85, v94
	;; [unrolled: 1-line block ×16, first 2 shown]
	ds_read_b128 v[85:88], v80 offset:4608
	s_waitcnt lgkmcnt(1)
	v_dot2c_f32_f16 v61, v97, v89
	v_dot2c_f32_f16 v62, v97, v90
	;; [unrolled: 1-line block ×15, first 2 shown]
	ds_read_b128 v[101:104], v81 offset:20992
	v_dot2c_f32_f16 v32, v100, v92
	v_dot2c_f32_f16 v77, v97, v93
	;; [unrolled: 1-line block ×15, first 2 shown]
	ds_read_b128 v[89:92], v81 offset:21248
	v_dot2c_f32_f16 v33, v100, v95
	v_dot2c_f32_f16 v24, v100, v96
	ds_read_b128 v[93:96], v80 offset:4864
	s_waitcnt lgkmcnt(2)
	v_dot2c_f32_f16 v70, v85, v101
	v_dot2c_f32_f16 v71, v85, v102
	;; [unrolled: 1-line block ×16, first 2 shown]
	s_waitcnt lgkmcnt(1)
	v_dot2c_f32_f16 v79, v85, v89
	v_dot2c_f32_f16 v76, v85, v90
	;; [unrolled: 1-line block ×16, first 2 shown]
	ds_read_b128 v[85:88], v80 offset:5120
	s_waitcnt lgkmcnt(1)
	v_dot2c_f32_f16 v61, v93, v101
	v_dot2c_f32_f16 v62, v93, v102
	;; [unrolled: 1-line block ×15, first 2 shown]
	ds_read_b128 v[97:100], v81 offset:21504
	v_dot2c_f32_f16 v32, v96, v104
	v_dot2c_f32_f16 v77, v93, v89
	;; [unrolled: 1-line block ×15, first 2 shown]
	ds_read_b128 v[101:104], v81 offset:21760
	v_dot2c_f32_f16 v33, v96, v91
	v_dot2c_f32_f16 v24, v96, v92
	ds_read_b128 v[89:92], v80 offset:5376
	s_waitcnt lgkmcnt(2)
	v_dot2c_f32_f16 v70, v85, v97
	v_dot2c_f32_f16 v71, v85, v98
	;; [unrolled: 1-line block ×16, first 2 shown]
	s_waitcnt lgkmcnt(1)
	v_dot2c_f32_f16 v79, v85, v101
	v_dot2c_f32_f16 v76, v85, v102
	;; [unrolled: 1-line block ×16, first 2 shown]
	ds_read_b128 v[85:88], v80 offset:5632
	s_waitcnt lgkmcnt(1)
	v_dot2c_f32_f16 v61, v89, v97
	v_dot2c_f32_f16 v62, v89, v98
	;; [unrolled: 1-line block ×15, first 2 shown]
	ds_read_b128 v[93:96], v81 offset:22016
	v_dot2c_f32_f16 v32, v92, v100
	v_dot2c_f32_f16 v77, v89, v101
	;; [unrolled: 1-line block ×15, first 2 shown]
	ds_read_b128 v[97:100], v81 offset:22272
	v_dot2c_f32_f16 v33, v92, v103
	v_dot2c_f32_f16 v24, v92, v104
	ds_read_b128 v[89:92], v80 offset:5888
	s_waitcnt lgkmcnt(2)
	v_dot2c_f32_f16 v70, v85, v93
	v_dot2c_f32_f16 v71, v85, v94
	v_dot2c_f32_f16 v46, v85, v95
	v_dot2c_f32_f16 v47, v85, v96
	v_dot2c_f32_f16 v65, v86, v93
	v_dot2c_f32_f16 v66, v86, v94
	v_dot2c_f32_f16 v40, v86, v95
	v_dot2c_f32_f16 v41, v86, v96
	v_dot2c_f32_f16 v58, v87, v93
	v_dot2c_f32_f16 v59, v87, v94
	v_dot2c_f32_f16 v37, v87, v95
	v_dot2c_f32_f16 v38, v87, v96
	v_dot2c_f32_f16 v53, v88, v93
	v_dot2c_f32_f16 v54, v88, v94
	v_dot2c_f32_f16 v28, v88, v95
	v_dot2c_f32_f16 v30, v88, v96
	s_waitcnt lgkmcnt(1)
	v_dot2c_f32_f16 v79, v85, v97
	v_dot2c_f32_f16 v76, v85, v98
	;; [unrolled: 1-line block ×16, first 2 shown]
	ds_read_b128 v[85:88], v80 offset:6144
	s_waitcnt lgkmcnt(1)
	v_dot2c_f32_f16 v61, v89, v93
	v_dot2c_f32_f16 v62, v89, v94
	;; [unrolled: 1-line block ×15, first 2 shown]
	ds_read_b128 v[101:104], v81 offset:22528
	v_dot2c_f32_f16 v32, v92, v96
	v_dot2c_f32_f16 v77, v89, v97
	;; [unrolled: 1-line block ×15, first 2 shown]
	ds_read_b128 v[93:96], v81 offset:22784
	v_dot2c_f32_f16 v33, v92, v99
	v_dot2c_f32_f16 v24, v92, v100
	ds_read_b128 v[89:92], v80 offset:6400
	s_waitcnt lgkmcnt(2)
	v_dot2c_f32_f16 v70, v85, v101
	v_dot2c_f32_f16 v71, v85, v102
	;; [unrolled: 1-line block ×16, first 2 shown]
	s_waitcnt lgkmcnt(1)
	v_dot2c_f32_f16 v79, v85, v93
	v_dot2c_f32_f16 v76, v85, v94
	;; [unrolled: 1-line block ×16, first 2 shown]
	ds_read_b128 v[85:88], v80 offset:6656
	s_waitcnt lgkmcnt(1)
	v_dot2c_f32_f16 v61, v89, v101
	v_dot2c_f32_f16 v62, v89, v102
	;; [unrolled: 1-line block ×15, first 2 shown]
	ds_read_b128 v[97:100], v81 offset:23040
	v_dot2c_f32_f16 v32, v92, v104
	v_dot2c_f32_f16 v77, v89, v93
	;; [unrolled: 1-line block ×15, first 2 shown]
	ds_read_b128 v[101:104], v81 offset:23296
	v_dot2c_f32_f16 v33, v92, v95
	v_dot2c_f32_f16 v24, v92, v96
	ds_read_b128 v[89:92], v80 offset:6912
	s_waitcnt lgkmcnt(2)
	v_dot2c_f32_f16 v70, v85, v97
	v_dot2c_f32_f16 v71, v85, v98
	;; [unrolled: 1-line block ×16, first 2 shown]
	s_waitcnt lgkmcnt(1)
	v_dot2c_f32_f16 v79, v85, v101
	v_dot2c_f32_f16 v76, v85, v102
	v_dot2c_f32_f16 v44, v85, v103
	v_dot2c_f32_f16 v45, v85, v104
	v_dot2c_f32_f16 v78, v86, v101
	v_dot2c_f32_f16 v75, v86, v102
	v_dot2c_f32_f16 v42, v86, v103
	v_dot2c_f32_f16 v43, v86, v104
	v_dot2c_f32_f16 v73, v87, v101
	v_dot2c_f32_f16 v68, v87, v102
	v_dot2c_f32_f16 v36, v87, v103
	v_dot2c_f32_f16 v39, v87, v104
	v_dot2c_f32_f16 v67, v88, v101
	v_dot2c_f32_f16 v60, v88, v102
	v_dot2c_f32_f16 v34, v88, v103
	v_dot2c_f32_f16 v35, v88, v104
	ds_read_b128 v[85:88], v80 offset:7168
	s_waitcnt lgkmcnt(1)
	v_dot2c_f32_f16 v61, v89, v97
	v_dot2c_f32_f16 v62, v89, v98
	;; [unrolled: 1-line block ×15, first 2 shown]
	ds_read_b128 v[93:96], v81 offset:23552
	v_dot2c_f32_f16 v32, v92, v100
	v_dot2c_f32_f16 v77, v89, v101
	;; [unrolled: 1-line block ×15, first 2 shown]
	ds_read_b128 v[97:100], v81 offset:23808
	v_dot2c_f32_f16 v33, v92, v103
	v_dot2c_f32_f16 v24, v92, v104
	ds_read_b128 v[89:92], v80 offset:7424
	s_waitcnt vmcnt(3)
	v_cndmask_b32_e64 v13, 0, v13, s3
	v_cndmask_b32_e64 v12, 0, v12, s3
	s_waitcnt lgkmcnt(2)
	v_dot2c_f32_f16 v70, v85, v93
	v_dot2c_f32_f16 v71, v85, v94
	;; [unrolled: 1-line block ×16, first 2 shown]
	s_waitcnt lgkmcnt(1)
	v_dot2c_f32_f16 v79, v85, v97
	v_dot2c_f32_f16 v76, v85, v98
	;; [unrolled: 1-line block ×16, first 2 shown]
	ds_read_b128 v[85:88], v80 offset:7680
	s_waitcnt lgkmcnt(1)
	v_dot2c_f32_f16 v61, v89, v93
	v_dot2c_f32_f16 v62, v89, v94
	;; [unrolled: 1-line block ×15, first 2 shown]
	ds_read_b128 v[101:104], v81 offset:24064
	v_dot2c_f32_f16 v32, v92, v96
	v_dot2c_f32_f16 v77, v89, v97
	;; [unrolled: 1-line block ×15, first 2 shown]
	ds_read_b128 v[93:96], v81 offset:24320
	v_dot2c_f32_f16 v33, v92, v99
	v_dot2c_f32_f16 v24, v92, v100
	ds_read_b128 v[89:92], v80 offset:7936
	v_cndmask_b32_e64 v15, 0, v15, s3
	v_cndmask_b32_e64 v14, 0, v14, s3
	s_waitcnt vmcnt(2)
	v_cndmask_b32_e64 v9, 0, v9, s2
	v_cndmask_b32_e64 v8, 0, v8, s2
	v_cndmask_b32_e64 v11, 0, v11, s2
	v_cndmask_b32_e64 v10, 0, v10, s2
	s_waitcnt vmcnt(1)
	v_cndmask_b32_e64 v7, 0, v7, s1
	v_cndmask_b32_e64 v6, 0, v6, s1
	;; [unrolled: 1-line block ×4, first 2 shown]
	s_waitcnt vmcnt(0)
	v_cndmask_b32_e32 v3, 0, v3, vcc_lo
	v_cndmask_b32_e32 v2, 0, v2, vcc_lo
	v_cndmask_b32_e32 v1, 0, v1, vcc_lo
	v_cndmask_b32_e32 v0, 0, v0, vcc_lo
	ds_write2st64_b32 v84, v12, v13 offset0:32 offset1:34
	ds_write2st64_b32 v84, v14, v15 offset0:36 offset1:38
	;; [unrolled: 1-line block ×8, first 2 shown]
	s_waitcnt lgkmcnt(0)
	s_barrier
	ds_read_b128 v[0:3], v80 offset:8192
	ds_read_b128 v[4:7], v81 offset:24576
	;; [unrolled: 1-line block ×4, first 2 shown]
	v_dot2c_f32_f16 v70, v85, v101
	v_dot2c_f32_f16 v71, v85, v102
	;; [unrolled: 1-line block ×64, first 2 shown]
	s_waitcnt lgkmcnt(2)
	v_dot2c_f32_f16 v70, v0, v4
	v_dot2c_f32_f16 v71, v0, v5
	;; [unrolled: 1-line block ×16, first 2 shown]
	ds_read_b128 v[84:87], v81 offset:25088
	s_waitcnt lgkmcnt(2)
	v_dot2c_f32_f16 v79, v0, v8
	v_dot2c_f32_f16 v76, v0, v9
	;; [unrolled: 1-line block ×16, first 2 shown]
	ds_read_b128 v[0:3], v80 offset:8704
	s_waitcnt lgkmcnt(2)
	v_dot2c_f32_f16 v61, v12, v4
	v_dot2c_f32_f16 v62, v12, v5
	;; [unrolled: 1-line block ×30, first 2 shown]
	ds_read_b128 v[4:7], v81 offset:25344
	v_dot2c_f32_f16 v33, v15, v10
	v_dot2c_f32_f16 v24, v15, v11
	ds_read_b128 v[8:11], v80 offset:8960
	s_waitcnt lgkmcnt(2)
	v_dot2c_f32_f16 v70, v0, v84
	v_dot2c_f32_f16 v71, v0, v85
	v_dot2c_f32_f16 v46, v0, v86
	v_dot2c_f32_f16 v47, v0, v87
	v_dot2c_f32_f16 v65, v1, v84
	v_dot2c_f32_f16 v66, v1, v85
	v_dot2c_f32_f16 v40, v1, v86
	v_dot2c_f32_f16 v41, v1, v87
	v_dot2c_f32_f16 v58, v2, v84
	v_dot2c_f32_f16 v59, v2, v85
	v_dot2c_f32_f16 v37, v2, v86
	v_dot2c_f32_f16 v38, v2, v87
	v_dot2c_f32_f16 v53, v3, v84
	v_dot2c_f32_f16 v54, v3, v85
	v_dot2c_f32_f16 v28, v3, v86
	v_dot2c_f32_f16 v30, v3, v87
	ds_read_b128 v[12:15], v81 offset:25600
	s_waitcnt lgkmcnt(2)
	v_dot2c_f32_f16 v79, v0, v4
	v_dot2c_f32_f16 v76, v0, v5
	v_dot2c_f32_f16 v44, v0, v6
	v_dot2c_f32_f16 v45, v0, v7
	v_dot2c_f32_f16 v78, v1, v4
	v_dot2c_f32_f16 v75, v1, v5
	v_dot2c_f32_f16 v42, v1, v6
	v_dot2c_f32_f16 v43, v1, v7
	v_dot2c_f32_f16 v73, v2, v4
	v_dot2c_f32_f16 v68, v2, v5
	v_dot2c_f32_f16 v36, v2, v6
	v_dot2c_f32_f16 v39, v2, v7
	v_dot2c_f32_f16 v67, v3, v4
	v_dot2c_f32_f16 v60, v3, v5
	;; [unrolled: 18-line block ×3, first 2 shown]
	v_dot2c_f32_f16 v31, v11, v86
	v_dot2c_f32_f16 v32, v11, v87
	;; [unrolled: 1-line block ×16, first 2 shown]
	ds_read_b128 v[84:87], v81 offset:25856
	v_dot2c_f32_f16 v33, v11, v6
	v_dot2c_f32_f16 v24, v11, v7
	ds_read_b128 v[4:7], v80 offset:9472
	s_waitcnt lgkmcnt(2)
	v_dot2c_f32_f16 v70, v0, v12
	v_dot2c_f32_f16 v71, v0, v13
	v_dot2c_f32_f16 v46, v0, v14
	v_dot2c_f32_f16 v47, v0, v15
	v_dot2c_f32_f16 v65, v1, v12
	v_dot2c_f32_f16 v66, v1, v13
	v_dot2c_f32_f16 v40, v1, v14
	v_dot2c_f32_f16 v41, v1, v15
	v_dot2c_f32_f16 v58, v2, v12
	v_dot2c_f32_f16 v59, v2, v13
	v_dot2c_f32_f16 v37, v2, v14
	v_dot2c_f32_f16 v38, v2, v15
	v_dot2c_f32_f16 v53, v3, v12
	v_dot2c_f32_f16 v54, v3, v13
	v_dot2c_f32_f16 v28, v3, v14
	v_dot2c_f32_f16 v30, v3, v15
	ds_read_b128 v[8:11], v81 offset:26112
	s_waitcnt lgkmcnt(2)
	v_dot2c_f32_f16 v79, v0, v84
	v_dot2c_f32_f16 v76, v0, v85
	v_dot2c_f32_f16 v44, v0, v86
	v_dot2c_f32_f16 v45, v0, v87
	v_dot2c_f32_f16 v78, v1, v84
	v_dot2c_f32_f16 v75, v1, v85
	v_dot2c_f32_f16 v42, v1, v86
	v_dot2c_f32_f16 v43, v1, v87
	v_dot2c_f32_f16 v73, v2, v84
	v_dot2c_f32_f16 v68, v2, v85
	v_dot2c_f32_f16 v36, v2, v86
	v_dot2c_f32_f16 v39, v2, v87
	v_dot2c_f32_f16 v67, v3, v84
	v_dot2c_f32_f16 v60, v3, v85
	;; [unrolled: 18-line block ×3, first 2 shown]
	v_dot2c_f32_f16 v31, v7, v14
	v_dot2c_f32_f16 v32, v7, v15
	;; [unrolled: 1-line block ×16, first 2 shown]
	ds_read_b128 v[12:15], v81 offset:26368
	v_dot2c_f32_f16 v33, v7, v86
	v_dot2c_f32_f16 v24, v7, v87
	ds_read_b128 v[4:7], v80 offset:9984
	s_waitcnt lgkmcnt(2)
	v_dot2c_f32_f16 v70, v0, v8
	v_dot2c_f32_f16 v71, v0, v9
	v_dot2c_f32_f16 v46, v0, v10
	v_dot2c_f32_f16 v47, v0, v11
	v_dot2c_f32_f16 v65, v1, v8
	v_dot2c_f32_f16 v66, v1, v9
	v_dot2c_f32_f16 v40, v1, v10
	v_dot2c_f32_f16 v41, v1, v11
	v_dot2c_f32_f16 v58, v2, v8
	v_dot2c_f32_f16 v59, v2, v9
	v_dot2c_f32_f16 v37, v2, v10
	v_dot2c_f32_f16 v38, v2, v11
	v_dot2c_f32_f16 v53, v3, v8
	v_dot2c_f32_f16 v54, v3, v9
	v_dot2c_f32_f16 v28, v3, v10
	v_dot2c_f32_f16 v30, v3, v11
	ds_read_b128 v[84:87], v81 offset:26624
	s_waitcnt lgkmcnt(2)
	v_dot2c_f32_f16 v79, v0, v12
	v_dot2c_f32_f16 v76, v0, v13
	v_dot2c_f32_f16 v44, v0, v14
	v_dot2c_f32_f16 v45, v0, v15
	v_dot2c_f32_f16 v78, v1, v12
	v_dot2c_f32_f16 v75, v1, v13
	v_dot2c_f32_f16 v42, v1, v14
	v_dot2c_f32_f16 v43, v1, v15
	v_dot2c_f32_f16 v73, v2, v12
	v_dot2c_f32_f16 v68, v2, v13
	v_dot2c_f32_f16 v36, v2, v14
	v_dot2c_f32_f16 v39, v2, v15
	v_dot2c_f32_f16 v67, v3, v12
	v_dot2c_f32_f16 v60, v3, v13
	;; [unrolled: 18-line block ×3, first 2 shown]
	v_dot2c_f32_f16 v31, v7, v10
	v_dot2c_f32_f16 v32, v7, v11
	;; [unrolled: 1-line block ×16, first 2 shown]
	ds_read_b128 v[8:11], v81 offset:26880
	v_dot2c_f32_f16 v33, v7, v14
	v_dot2c_f32_f16 v24, v7, v15
	ds_read_b128 v[4:7], v80 offset:10496
	s_waitcnt lgkmcnt(2)
	v_dot2c_f32_f16 v70, v0, v84
	v_dot2c_f32_f16 v71, v0, v85
	v_dot2c_f32_f16 v46, v0, v86
	v_dot2c_f32_f16 v47, v0, v87
	v_dot2c_f32_f16 v65, v1, v84
	v_dot2c_f32_f16 v66, v1, v85
	v_dot2c_f32_f16 v40, v1, v86
	v_dot2c_f32_f16 v41, v1, v87
	v_dot2c_f32_f16 v58, v2, v84
	v_dot2c_f32_f16 v59, v2, v85
	v_dot2c_f32_f16 v37, v2, v86
	v_dot2c_f32_f16 v38, v2, v87
	v_dot2c_f32_f16 v53, v3, v84
	v_dot2c_f32_f16 v54, v3, v85
	v_dot2c_f32_f16 v28, v3, v86
	v_dot2c_f32_f16 v30, v3, v87
	ds_read_b128 v[12:15], v81 offset:27136
	s_waitcnt lgkmcnt(2)
	v_dot2c_f32_f16 v79, v0, v8
	v_dot2c_f32_f16 v76, v0, v9
	v_dot2c_f32_f16 v44, v0, v10
	v_dot2c_f32_f16 v45, v0, v11
	v_dot2c_f32_f16 v78, v1, v8
	v_dot2c_f32_f16 v75, v1, v9
	v_dot2c_f32_f16 v42, v1, v10
	v_dot2c_f32_f16 v43, v1, v11
	v_dot2c_f32_f16 v73, v2, v8
	v_dot2c_f32_f16 v68, v2, v9
	v_dot2c_f32_f16 v36, v2, v10
	v_dot2c_f32_f16 v39, v2, v11
	v_dot2c_f32_f16 v67, v3, v8
	v_dot2c_f32_f16 v60, v3, v9
	v_dot2c_f32_f16 v34, v3, v10
	v_dot2c_f32_f16 v35, v3, v11
	ds_read_b128 v[0:3], v80 offset:10752
	s_waitcnt lgkmcnt(2)
	v_dot2c_f32_f16 v61, v4, v84
	v_dot2c_f32_f16 v62, v4, v85
	v_dot2c_f32_f16 v16, v4, v86
	v_dot2c_f32_f16 v17, v4, v87
	v_dot2c_f32_f16 v56, v5, v84
	v_dot2c_f32_f16 v57, v5, v85
	v_dot2c_f32_f16 v20, v5, v86
	v_dot2c_f32_f16 v21, v5, v87
	v_dot2c_f32_f16 v50, v6, v84
	v_dot2c_f32_f16 v51, v6, v85
	v_dot2c_f32_f16 v25, v6, v86
	v_dot2c_f32_f16 v26, v6, v87
	v_dot2c_f32_f16 v48, v7, v84
	v_dot2c_f32_f16 v49, v7, v85
	v_dot2c_f32_f16 v31, v7, v86
	v_dot2c_f32_f16 v32, v7, v87
	;; [unrolled: 1-line block ×16, first 2 shown]
	ds_read_b128 v[84:87], v81 offset:27392
	v_dot2c_f32_f16 v33, v7, v10
	v_dot2c_f32_f16 v24, v7, v11
	ds_read_b128 v[4:7], v80 offset:11008
	s_waitcnt lgkmcnt(2)
	v_dot2c_f32_f16 v70, v0, v12
	v_dot2c_f32_f16 v71, v0, v13
	v_dot2c_f32_f16 v46, v0, v14
	v_dot2c_f32_f16 v47, v0, v15
	v_dot2c_f32_f16 v65, v1, v12
	v_dot2c_f32_f16 v66, v1, v13
	v_dot2c_f32_f16 v40, v1, v14
	v_dot2c_f32_f16 v41, v1, v15
	v_dot2c_f32_f16 v58, v2, v12
	v_dot2c_f32_f16 v59, v2, v13
	v_dot2c_f32_f16 v37, v2, v14
	v_dot2c_f32_f16 v38, v2, v15
	v_dot2c_f32_f16 v53, v3, v12
	v_dot2c_f32_f16 v54, v3, v13
	v_dot2c_f32_f16 v28, v3, v14
	v_dot2c_f32_f16 v30, v3, v15
	ds_read_b128 v[8:11], v81 offset:27648
	s_waitcnt lgkmcnt(2)
	v_dot2c_f32_f16 v79, v0, v84
	v_dot2c_f32_f16 v76, v0, v85
	v_dot2c_f32_f16 v44, v0, v86
	v_dot2c_f32_f16 v45, v0, v87
	v_dot2c_f32_f16 v78, v1, v84
	v_dot2c_f32_f16 v75, v1, v85
	v_dot2c_f32_f16 v42, v1, v86
	v_dot2c_f32_f16 v43, v1, v87
	v_dot2c_f32_f16 v73, v2, v84
	v_dot2c_f32_f16 v68, v2, v85
	v_dot2c_f32_f16 v36, v2, v86
	v_dot2c_f32_f16 v39, v2, v87
	v_dot2c_f32_f16 v67, v3, v84
	v_dot2c_f32_f16 v60, v3, v85
	;; [unrolled: 18-line block ×3, first 2 shown]
	v_dot2c_f32_f16 v31, v7, v14
	v_dot2c_f32_f16 v32, v7, v15
	;; [unrolled: 1-line block ×16, first 2 shown]
	ds_read_b128 v[12:15], v81 offset:27904
	v_dot2c_f32_f16 v33, v7, v86
	v_dot2c_f32_f16 v24, v7, v87
	ds_read_b128 v[4:7], v80 offset:11520
	s_waitcnt lgkmcnt(2)
	v_dot2c_f32_f16 v70, v0, v8
	v_dot2c_f32_f16 v71, v0, v9
	v_dot2c_f32_f16 v46, v0, v10
	v_dot2c_f32_f16 v47, v0, v11
	v_dot2c_f32_f16 v65, v1, v8
	v_dot2c_f32_f16 v66, v1, v9
	v_dot2c_f32_f16 v40, v1, v10
	v_dot2c_f32_f16 v41, v1, v11
	v_dot2c_f32_f16 v58, v2, v8
	v_dot2c_f32_f16 v59, v2, v9
	v_dot2c_f32_f16 v37, v2, v10
	v_dot2c_f32_f16 v38, v2, v11
	v_dot2c_f32_f16 v53, v3, v8
	v_dot2c_f32_f16 v54, v3, v9
	v_dot2c_f32_f16 v28, v3, v10
	v_dot2c_f32_f16 v30, v3, v11
	ds_read_b128 v[84:87], v81 offset:28160
	s_waitcnt lgkmcnt(2)
	v_dot2c_f32_f16 v79, v0, v12
	v_dot2c_f32_f16 v76, v0, v13
	v_dot2c_f32_f16 v44, v0, v14
	v_dot2c_f32_f16 v45, v0, v15
	v_dot2c_f32_f16 v78, v1, v12
	v_dot2c_f32_f16 v75, v1, v13
	v_dot2c_f32_f16 v42, v1, v14
	v_dot2c_f32_f16 v43, v1, v15
	v_dot2c_f32_f16 v73, v2, v12
	v_dot2c_f32_f16 v68, v2, v13
	v_dot2c_f32_f16 v36, v2, v14
	v_dot2c_f32_f16 v39, v2, v15
	v_dot2c_f32_f16 v67, v3, v12
	v_dot2c_f32_f16 v60, v3, v13
	;; [unrolled: 18-line block ×3, first 2 shown]
	v_dot2c_f32_f16 v31, v7, v10
	v_dot2c_f32_f16 v32, v7, v11
	v_dot2c_f32_f16 v77, v4, v12
	v_dot2c_f32_f16 v74, v4, v13
	v_dot2c_f32_f16 v18, v4, v14
	v_dot2c_f32_f16 v19, v4, v15
	v_dot2c_f32_f16 v72, v5, v12
	v_dot2c_f32_f16 v69, v5, v13
	v_dot2c_f32_f16 v22, v5, v14
	v_dot2c_f32_f16 v23, v5, v15
	v_dot2c_f32_f16 v63, v6, v12
	v_dot2c_f32_f16 v64, v6, v13
	v_dot2c_f32_f16 v27, v6, v14
	v_dot2c_f32_f16 v29, v6, v15
	v_dot2c_f32_f16 v55, v7, v12
	v_dot2c_f32_f16 v52, v7, v13
	ds_read_b128 v[8:11], v81 offset:28416
	v_dot2c_f32_f16 v33, v7, v14
	v_dot2c_f32_f16 v24, v7, v15
	ds_read_b128 v[4:7], v80 offset:12032
	s_waitcnt lgkmcnt(2)
	v_dot2c_f32_f16 v70, v0, v84
	v_dot2c_f32_f16 v71, v0, v85
	v_dot2c_f32_f16 v46, v0, v86
	v_dot2c_f32_f16 v47, v0, v87
	v_dot2c_f32_f16 v65, v1, v84
	v_dot2c_f32_f16 v66, v1, v85
	v_dot2c_f32_f16 v40, v1, v86
	v_dot2c_f32_f16 v41, v1, v87
	v_dot2c_f32_f16 v58, v2, v84
	v_dot2c_f32_f16 v59, v2, v85
	v_dot2c_f32_f16 v37, v2, v86
	v_dot2c_f32_f16 v38, v2, v87
	v_dot2c_f32_f16 v53, v3, v84
	v_dot2c_f32_f16 v54, v3, v85
	v_dot2c_f32_f16 v28, v3, v86
	v_dot2c_f32_f16 v30, v3, v87
	ds_read_b128 v[12:15], v81 offset:28672
	s_waitcnt lgkmcnt(2)
	v_dot2c_f32_f16 v79, v0, v8
	v_dot2c_f32_f16 v76, v0, v9
	v_dot2c_f32_f16 v44, v0, v10
	v_dot2c_f32_f16 v45, v0, v11
	v_dot2c_f32_f16 v78, v1, v8
	v_dot2c_f32_f16 v75, v1, v9
	v_dot2c_f32_f16 v42, v1, v10
	v_dot2c_f32_f16 v43, v1, v11
	v_dot2c_f32_f16 v73, v2, v8
	v_dot2c_f32_f16 v68, v2, v9
	v_dot2c_f32_f16 v36, v2, v10
	v_dot2c_f32_f16 v39, v2, v11
	v_dot2c_f32_f16 v67, v3, v8
	v_dot2c_f32_f16 v60, v3, v9
	;; [unrolled: 18-line block ×3, first 2 shown]
	v_dot2c_f32_f16 v31, v7, v86
	v_dot2c_f32_f16 v32, v7, v87
	;; [unrolled: 1-line block ×16, first 2 shown]
	ds_read_b128 v[84:87], v81 offset:28928
	v_dot2c_f32_f16 v33, v7, v10
	v_dot2c_f32_f16 v24, v7, v11
	ds_read_b128 v[4:7], v80 offset:12544
	s_waitcnt lgkmcnt(2)
	v_dot2c_f32_f16 v70, v0, v12
	v_dot2c_f32_f16 v71, v0, v13
	v_dot2c_f32_f16 v46, v0, v14
	v_dot2c_f32_f16 v47, v0, v15
	v_dot2c_f32_f16 v65, v1, v12
	v_dot2c_f32_f16 v66, v1, v13
	v_dot2c_f32_f16 v40, v1, v14
	v_dot2c_f32_f16 v41, v1, v15
	v_dot2c_f32_f16 v58, v2, v12
	v_dot2c_f32_f16 v59, v2, v13
	v_dot2c_f32_f16 v37, v2, v14
	v_dot2c_f32_f16 v38, v2, v15
	v_dot2c_f32_f16 v53, v3, v12
	v_dot2c_f32_f16 v54, v3, v13
	v_dot2c_f32_f16 v28, v3, v14
	v_dot2c_f32_f16 v30, v3, v15
	ds_read_b128 v[8:11], v81 offset:29184
	s_waitcnt lgkmcnt(2)
	v_dot2c_f32_f16 v79, v0, v84
	v_dot2c_f32_f16 v76, v0, v85
	v_dot2c_f32_f16 v44, v0, v86
	v_dot2c_f32_f16 v45, v0, v87
	v_dot2c_f32_f16 v78, v1, v84
	v_dot2c_f32_f16 v75, v1, v85
	v_dot2c_f32_f16 v42, v1, v86
	v_dot2c_f32_f16 v43, v1, v87
	v_dot2c_f32_f16 v73, v2, v84
	v_dot2c_f32_f16 v68, v2, v85
	v_dot2c_f32_f16 v36, v2, v86
	v_dot2c_f32_f16 v39, v2, v87
	v_dot2c_f32_f16 v67, v3, v84
	v_dot2c_f32_f16 v60, v3, v85
	;; [unrolled: 18-line block ×3, first 2 shown]
	v_dot2c_f32_f16 v31, v7, v14
	v_dot2c_f32_f16 v32, v7, v15
	;; [unrolled: 1-line block ×16, first 2 shown]
	ds_read_b128 v[12:15], v81 offset:29440
	v_dot2c_f32_f16 v33, v7, v86
	v_dot2c_f32_f16 v24, v7, v87
	ds_read_b128 v[4:7], v80 offset:13056
	s_waitcnt lgkmcnt(2)
	v_dot2c_f32_f16 v70, v0, v8
	v_dot2c_f32_f16 v71, v0, v9
	v_dot2c_f32_f16 v46, v0, v10
	v_dot2c_f32_f16 v47, v0, v11
	v_dot2c_f32_f16 v65, v1, v8
	v_dot2c_f32_f16 v66, v1, v9
	v_dot2c_f32_f16 v40, v1, v10
	v_dot2c_f32_f16 v41, v1, v11
	v_dot2c_f32_f16 v58, v2, v8
	v_dot2c_f32_f16 v59, v2, v9
	v_dot2c_f32_f16 v37, v2, v10
	v_dot2c_f32_f16 v38, v2, v11
	v_dot2c_f32_f16 v53, v3, v8
	v_dot2c_f32_f16 v54, v3, v9
	v_dot2c_f32_f16 v28, v3, v10
	v_dot2c_f32_f16 v30, v3, v11
	ds_read_b128 v[84:87], v81 offset:29696
	s_waitcnt lgkmcnt(2)
	v_dot2c_f32_f16 v79, v0, v12
	v_dot2c_f32_f16 v76, v0, v13
	v_dot2c_f32_f16 v44, v0, v14
	v_dot2c_f32_f16 v45, v0, v15
	v_dot2c_f32_f16 v78, v1, v12
	v_dot2c_f32_f16 v75, v1, v13
	v_dot2c_f32_f16 v42, v1, v14
	v_dot2c_f32_f16 v43, v1, v15
	v_dot2c_f32_f16 v73, v2, v12
	v_dot2c_f32_f16 v68, v2, v13
	v_dot2c_f32_f16 v36, v2, v14
	v_dot2c_f32_f16 v39, v2, v15
	v_dot2c_f32_f16 v67, v3, v12
	v_dot2c_f32_f16 v60, v3, v13
	;; [unrolled: 18-line block ×3, first 2 shown]
	v_dot2c_f32_f16 v31, v7, v10
	v_dot2c_f32_f16 v32, v7, v11
	ds_read_b128 v[8:11], v81 offset:29952
	ds_read_b128 v[88:91], v80 offset:13568
	v_dot2c_f32_f16 v77, v4, v12
	v_dot2c_f32_f16 v74, v4, v13
	;; [unrolled: 1-line block ×16, first 2 shown]
	s_waitcnt lgkmcnt(2)
	v_dot2c_f32_f16 v70, v0, v84
	v_dot2c_f32_f16 v71, v0, v85
	;; [unrolled: 1-line block ×16, first 2 shown]
	ds_read_b128 v[12:15], v81 offset:30208
	s_waitcnt lgkmcnt(2)
	v_dot2c_f32_f16 v79, v0, v8
	v_dot2c_f32_f16 v76, v0, v9
	;; [unrolled: 1-line block ×16, first 2 shown]
	ds_read_b128 v[0:3], v80 offset:13824
	s_waitcnt lgkmcnt(2)
	v_dot2c_f32_f16 v77, v88, v8
	v_dot2c_f32_f16 v74, v88, v9
	;; [unrolled: 1-line block ×14, first 2 shown]
	ds_read_b128 v[4:7], v81 offset:30464
	v_dot2c_f32_f16 v33, v91, v10
	v_dot2c_f32_f16 v24, v91, v11
	ds_read_b128 v[8:11], v80 offset:14080
	v_dot2c_f32_f16 v61, v88, v84
	v_dot2c_f32_f16 v56, v89, v84
	v_dot2c_f32_f16 v50, v90, v84
	v_dot2c_f32_f16 v48, v91, v84
	v_mul_lo_u32 v84, v83, s18
	v_dot2c_f32_f16 v62, v88, v85
	v_dot2c_f32_f16 v57, v89, v85
	;; [unrolled: 1-line block ×6, first 2 shown]
	s_waitcnt lgkmcnt(2)
	v_dot2c_f32_f16 v70, v0, v12
	v_mad_u64_u32 v[84:85], null, v82, s19, v[84:85]
	v_dot2c_f32_f16 v71, v0, v13
	v_dot2c_f32_f16 v46, v0, v14
	;; [unrolled: 1-line block ×15, first 2 shown]
	s_waitcnt lgkmcnt(1)
	v_dot2c_f32_f16 v79, v0, v4
	v_dot2c_f32_f16 v76, v0, v5
	;; [unrolled: 1-line block ×16, first 2 shown]
	ds_read_b128 v[0:3], v80 offset:14336
	s_waitcnt lgkmcnt(1)
	v_dot2c_f32_f16 v61, v8, v12
	v_dot2c_f32_f16 v62, v8, v13
	;; [unrolled: 1-line block ×8, first 2 shown]
	v_lshlrev_b32_e32 v8, 1, v84
	v_dot2c_f32_f16 v20, v89, v86
	v_dot2c_f32_f16 v21, v89, v87
	;; [unrolled: 1-line block ×4, first 2 shown]
	buffer_load_dwordx2 v[88:89], v8, s[24:27], 0 offen
	v_add_lshl_u32 v8, v84, s0, 1
	v_dot2c_f32_f16 v31, v91, v86
	v_dot2c_f32_f16 v32, v91, v87
	v_add_nc_u32_e32 v84, s18, v84
	v_dot2c_f32_f16 v56, v9, v12
	buffer_load_dwordx2 v[90:91], v8, s[24:27], 0 offen
	v_dot2c_f32_f16 v57, v9, v13
	v_dot2c_f32_f16 v20, v9, v14
	v_lshlrev_b32_e32 v85, 1, v84
	v_dot2c_f32_f16 v21, v9, v15
	v_dot2c_f32_f16 v50, v10, v12
	;; [unrolled: 1-line block ×4, first 2 shown]
	buffer_load_dwordx2 v[92:93], v85, s[24:27], 0 offen
	v_dot2c_f32_f16 v26, v10, v15
	v_dot2c_f32_f16 v48, v11, v12
	;; [unrolled: 1-line block ×5, first 2 shown]
	ds_read_b128 v[12:15], v81 offset:30720
	v_dot2c_f32_f16 v72, v9, v4
	v_dot2c_f32_f16 v69, v9, v5
	;; [unrolled: 1-line block ×12, first 2 shown]
	ds_read_b128 v[4:7], v81 offset:30976
	v_add_lshl_u32 v86, v84, s0, 1
	v_add_nc_u32_e32 v84, s18, v84
	v_cmp_gt_i32_e32 vcc_lo, s37, v82
	s_mov_b32 s19, s23
	buffer_load_dwordx2 v[94:95], v86, s[24:27], 0 offen
	v_lshlrev_b32_e32 v85, 1, v84
	v_add_lshl_u32 v86, v84, s0, 1
	v_add_nc_u32_e32 v84, s18, v84
	s_waitcnt lgkmcnt(1)
	v_dot2c_f32_f16 v70, v0, v12
	v_dot2c_f32_f16 v71, v0, v13
	s_clause 0x1
	buffer_load_dwordx2 v[96:97], v85, s[24:27], 0 offen
	buffer_load_dwordx2 v[98:99], v86, s[24:27], 0 offen
	v_dot2c_f32_f16 v46, v0, v14
	v_dot2c_f32_f16 v47, v0, v15
	v_add_lshl_u32 v85, v84, s0, 1
	v_dot2c_f32_f16 v65, v1, v12
	v_dot2c_f32_f16 v66, v1, v13
	;; [unrolled: 1-line block ×3, first 2 shown]
	s_waitcnt lgkmcnt(0)
	v_dot2c_f32_f16 v79, v0, v4
	v_dot2c_f32_f16 v76, v0, v5
	;; [unrolled: 1-line block ×4, first 2 shown]
	v_lshlrev_b32_e32 v0, 1, v84
	buffer_load_dwordx2 v[102:103], v85, s[24:27], 0 offen
	v_mad_u64_u32 v[84:85], null, s18, 61, v[84:85]
	v_dot2c_f32_f16 v41, v1, v15
	buffer_load_dwordx2 v[100:101], v0, s[24:27], 0 offen
	ds_read_b128 v[8:11], v80 offset:14592
	v_dot2c_f32_f16 v58, v2, v12
	v_dot2c_f32_f16 v59, v2, v13
	;; [unrolled: 1-line block ×3, first 2 shown]
	v_lshlrev_b32_e32 v85, 1, v84
	v_add_lshl_u32 v86, v84, s0, 1
	v_add_nc_u32_e32 v84, s18, v84
	v_dot2c_f32_f16 v38, v2, v15
	v_dot2c_f32_f16 v53, v3, v12
	s_clause 0x1
	buffer_load_dwordx2 v[104:105], v85, s[24:27], 0 offen
	buffer_load_dwordx2 v[106:107], v86, s[24:27], 0 offen
	v_dot2c_f32_f16 v54, v3, v13
	v_dot2c_f32_f16 v28, v3, v14
	;; [unrolled: 1-line block ×15, first 2 shown]
	ds_read_b128 v[0:3], v80 offset:14848
	s_waitcnt lgkmcnt(1)
	v_dot2c_f32_f16 v61, v8, v12
	v_dot2c_f32_f16 v62, v8, v13
	;; [unrolled: 1-line block ×16, first 2 shown]
	v_lshlrev_b32_e32 v8, 1, v84
	v_add_lshl_u32 v9, v84, s0, 1
	v_dot2c_f32_f16 v50, v10, v12
	v_dot2c_f32_f16 v51, v10, v13
	;; [unrolled: 1-line block ×8, first 2 shown]
	ds_read_b128 v[12:15], v81 offset:31232
	v_dot2c_f32_f16 v63, v10, v4
	v_dot2c_f32_f16 v64, v10, v5
	;; [unrolled: 1-line block ×5, first 2 shown]
	s_clause 0x1
	buffer_load_dwordx2 v[108:109], v8, s[24:27], 0 offen
	buffer_load_dwordx2 v[110:111], v9, s[24:27], 0 offen
	v_dot2c_f32_f16 v52, v11, v5
	v_dot2c_f32_f16 v33, v11, v6
	;; [unrolled: 1-line block ×3, first 2 shown]
	ds_read_b128 v[4:7], v81 offset:31488
	ds_read_b128 v[8:11], v80 offset:15104
	v_add_nc_u32_e32 v84, s18, v84
	v_lshlrev_b32_e32 v85, 1, v84
	s_waitcnt lgkmcnt(2)
	v_dot2c_f32_f16 v70, v0, v12
	v_dot2c_f32_f16 v71, v0, v13
	buffer_load_dwordx2 v[112:113], v85, s[24:27], 0 offen
	v_add_lshl_u32 v85, v84, s0, 1
	v_add_nc_u32_e32 v84, s18, v84
	v_dot2c_f32_f16 v46, v0, v14
	v_dot2c_f32_f16 v47, v0, v15
	;; [unrolled: 1-line block ×3, first 2 shown]
	buffer_load_dwordx2 v[114:115], v85, s[24:27], 0 offen
	v_dot2c_f32_f16 v66, v1, v13
	s_waitcnt lgkmcnt(1)
	v_dot2c_f32_f16 v79, v0, v4
	v_dot2c_f32_f16 v76, v0, v5
	v_dot2c_f32_f16 v44, v0, v6
	v_dot2c_f32_f16 v45, v0, v7
	v_add_lshl_u32 v0, v84, s0, 1
	v_dot2c_f32_f16 v40, v1, v14
	v_dot2c_f32_f16 v41, v1, v15
	v_dot2c_f32_f16 v58, v2, v12
	v_dot2c_f32_f16 v59, v2, v13
	buffer_load_dwordx2 v[118:119], v0, s[24:27], 0 offen
	v_lshlrev_b32_e32 v85, 1, v84
	v_dot2c_f32_f16 v37, v2, v14
	v_dot2c_f32_f16 v38, v2, v15
	;; [unrolled: 1-line block ×4, first 2 shown]
	buffer_load_dwordx2 v[116:117], v85, s[24:27], 0 offen
	v_dot2c_f32_f16 v28, v3, v14
	v_dot2c_f32_f16 v30, v3, v15
	;; [unrolled: 1-line block ×14, first 2 shown]
	ds_read_b128 v[0:3], v80 offset:15360
	s_waitcnt lgkmcnt(1)
	v_dot2c_f32_f16 v61, v8, v12
	v_dot2c_f32_f16 v62, v8, v13
	;; [unrolled: 1-line block ×15, first 2 shown]
	ds_read_b128 v[84:87], v81 offset:31744
	v_dot2c_f32_f16 v32, v11, v15
	v_dot2c_f32_f16 v77, v8, v4
	;; [unrolled: 1-line block ×15, first 2 shown]
	ds_read_b128 v[12:15], v81 offset:32000
	v_dot2c_f32_f16 v33, v11, v6
	v_dot2c_f32_f16 v24, v11, v7
	ds_read_b128 v[4:7], v80 offset:15616
	s_waitcnt lgkmcnt(2)
	v_dot2c_f32_f16 v70, v0, v84
	v_dot2c_f32_f16 v71, v0, v85
	;; [unrolled: 1-line block ×16, first 2 shown]
	s_waitcnt lgkmcnt(1)
	v_dot2c_f32_f16 v79, v0, v12
	v_dot2c_f32_f16 v76, v0, v13
	;; [unrolled: 1-line block ×16, first 2 shown]
	ds_read_b128 v[0:3], v80 offset:15872
	s_waitcnt lgkmcnt(1)
	v_dot2c_f32_f16 v61, v4, v84
	v_dot2c_f32_f16 v62, v4, v85
	;; [unrolled: 1-line block ×15, first 2 shown]
	ds_read_b128 v[8:11], v81 offset:32256
	v_dot2c_f32_f16 v32, v7, v87
	v_dot2c_f32_f16 v77, v4, v12
	;; [unrolled: 1-line block ×17, first 2 shown]
	ds_read_b128 v[4:7], v80 offset:16128
	ds_read_b128 v[84:87], v81 offset:32512
	v_cmp_gt_i32_e64 s0, s15, v83
	s_waitcnt lgkmcnt(2)
	v_dot2c_f32_f16 v46, v0, v10
	v_dot2c_f32_f16 v40, v1, v10
	;; [unrolled: 1-line block ×4, first 2 shown]
	s_and_b32 s1, s0, vcc_lo
	v_dot2c_f32_f16 v70, v0, v8
	v_dot2c_f32_f16 v71, v0, v9
	;; [unrolled: 1-line block ×6, first 2 shown]
	v_or_b32_e32 v12, 1, v83
	v_dot2c_f32_f16 v66, v1, v9
	v_dot2c_f32_f16 v41, v1, v11
	;; [unrolled: 1-line block ×5, first 2 shown]
	s_waitcnt lgkmcnt(1)
	v_dot2c_f32_f16 v16, v4, v10
	v_dot2c_f32_f16 v20, v5, v10
	v_dot2c_f32_f16 v25, v6, v10
	v_dot2c_f32_f16 v31, v7, v10
	v_add_nc_u32_e32 v10, 64, v82
	s_waitcnt lgkmcnt(0)
	v_dot2c_f32_f16 v79, v0, v84
	v_dot2c_f32_f16 v76, v0, v85
	;; [unrolled: 1-line block ×17, first 2 shown]
	s_waitcnt vmcnt(15)
	v_cndmask_b32_e64 v8, 0, v89, s1
	v_cndmask_b32_e64 v0, 0, v88, s1
	v_cmp_gt_i32_e64 s1, s37, v10
	v_dot2c_f32_f16 v21, v5, v11
	v_dot2c_f32_f16 v26, v6, v11
	;; [unrolled: 1-line block ×3, first 2 shown]
	v_cvt_f32_f16_e32 v1, v0
	s_and_b32 s0, s0, s1
	v_cvt_f32_f16_sdwa v0, v0 dst_sel:DWORD dst_unused:UNUSED_PAD src0_sel:WORD_1
	s_waitcnt vmcnt(14)
	v_cndmask_b32_e64 v2, 0, v90, s0
	v_cndmask_b32_e64 v11, 0, v91, s0
	v_cmp_gt_i32_e64 s0, s15, v12
	v_dot2c_f32_f16 v54, v3, v9
	v_dot2c_f32_f16 v67, v3, v84
	;; [unrolled: 1-line block ×5, first 2 shown]
	v_add_f32_e32 v1, v70, v1
	v_add_f32_e32 v0, v71, v0
	v_cvt_f32_f16_e32 v3, v2
	s_and_b32 s2, s0, vcc_lo
	v_dot2c_f32_f16 v62, v4, v9
	v_dot2c_f32_f16 v57, v5, v9
	;; [unrolled: 1-line block ×4, first 2 shown]
	v_max_f32_e32 v9, 0, v1
	v_max_f32_e32 v13, 0, v0
	v_add_f32_e32 v0, v79, v3
	s_waitcnt vmcnt(13)
	v_cndmask_b32_e64 v1, 0, v92, s2
	v_or_b32_e32 v71, 2, v83
	s_and_b32 s0, s0, s1
	v_cvt_f32_f16_sdwa v2, v2 dst_sel:DWORD dst_unused:UNUSED_PAD src0_sel:WORD_1
	v_max_f32_e32 v70, 0, v0
	v_cvt_f32_f16_e32 v0, v1
	v_cvt_f32_f16_sdwa v1, v1 dst_sel:DWORD dst_unused:UNUSED_PAD src0_sel:WORD_1
	v_dot2c_f32_f16 v77, v4, v84
	v_dot2c_f32_f16 v74, v4, v85
	;; [unrolled: 1-line block ×3, first 2 shown]
	v_add_f32_e32 v0, v65, v0
	s_waitcnt vmcnt(12)
	v_cndmask_b32_e64 v3, 0, v94, s0
	v_cndmask_b32_e64 v15, 0, v95, s0
	v_cmp_gt_i32_e64 s0, s15, v71
	v_add_f32_e32 v1, v66, v1
	v_dot2c_f32_f16 v19, v4, v87
	v_cvt_f32_f16_e32 v4, v3
	v_add_f32_e32 v2, v76, v2
	v_cndmask_b32_e64 v14, 0, v93, s2
	s_and_b32 s2, s0, vcc_lo
	v_max_f32_e32 v66, 0, v0
	v_max_f32_e32 v76, 0, v1
	v_cvt_f32_f16_sdwa v0, v3 dst_sel:DWORD dst_unused:UNUSED_PAD src0_sel:WORD_1
	s_waitcnt vmcnt(11)
	v_cndmask_b32_e64 v1, 0, v96, s2
	s_and_b32 s0, s0, s1
	v_or_b32_e32 v81, 3, v83
	v_add_f32_e32 v4, v78, v4
	v_max_f32_e32 v65, 0, v2
	s_waitcnt vmcnt(10)
	v_cndmask_b32_e64 v2, 0, v98, s0
	v_cndmask_b32_e64 v80, 0, v99, s0
	v_add_f32_e32 v0, v75, v0
	v_cvt_f32_f16_e32 v3, v1
	v_cmp_gt_i32_e64 s0, s15, v81
	v_max_f32_e32 v78, 0, v4
	v_cvt_f32_f16_sdwa v1, v1 dst_sel:DWORD dst_unused:UNUSED_PAD src0_sel:WORD_1
	v_cvt_f32_f16_e32 v4, v2
	v_cndmask_b32_e64 v79, 0, v97, s2
	v_max_f32_e32 v75, 0, v0
	v_add_f32_e32 v0, v58, v3
	s_and_b32 s2, s0, vcc_lo
	v_add_f32_e32 v1, v59, v1
	v_add_f32_e32 v3, v73, v4
	s_waitcnt vmcnt(8)
	v_cndmask_b32_e64 v4, 0, v100, s2
	v_max_f32_e32 v59, 0, v0
	s_and_b32 s0, s0, s1
	v_or_b32_e32 v0, 64, v83
	v_dot2c_f32_f16 v72, v5, v84
	v_dot2c_f32_f16 v63, v6, v84
	;; [unrolled: 1-line block ×3, first 2 shown]
	v_max_f32_e32 v73, 0, v1
	v_max_f32_e32 v84, 0, v3
	v_cvt_f32_f16_sdwa v1, v2 dst_sel:DWORD dst_unused:UNUSED_PAD src0_sel:WORD_1
	v_cvt_f32_f16_e32 v2, v4
	v_cvt_f32_f16_sdwa v3, v4 dst_sel:DWORD dst_unused:UNUSED_PAD src0_sel:WORD_1
	v_cndmask_b32_e64 v4, 0, v102, s0
	v_dot2c_f32_f16 v69, v5, v85
	v_dot2c_f32_f16 v64, v6, v85
	;; [unrolled: 1-line block ×3, first 2 shown]
	v_cndmask_b32_e64 v85, 0, v103, s0
	v_cmp_gt_i32_e64 s0, s15, v0
	v_dot2c_f32_f16 v22, v5, v86
	v_dot2c_f32_f16 v23, v5, v87
	v_cvt_f32_f16_e32 v5, v4
	v_cvt_f32_f16_sdwa v4, v4 dst_sel:DWORD dst_unused:UNUSED_PAD src0_sel:WORD_1
	v_add_f32_e32 v1, v68, v1
	v_add_f32_e32 v2, v53, v2
	v_cndmask_b32_e64 v58, 0, v101, s2
	s_and_b32 s2, s0, vcc_lo
	s_and_b32 s0, s0, s1
	v_dot2c_f32_f16 v33, v7, v86
	v_dot2c_f32_f16 v24, v7, v87
	s_waitcnt vmcnt(6)
	v_cndmask_b32_e64 v7, 0, v106, s0
	v_add_f32_e32 v60, v60, v4
	v_or_b32_e32 v4, 0x41, v83
	v_add_f32_e32 v3, v54, v3
	v_max_f32_e32 v53, 0, v1
	v_max_f32_e32 v54, 0, v2
	v_add_f32_e32 v1, v67, v5
	v_cndmask_b32_e64 v2, 0, v104, s2
	v_dot2c_f32_f16 v27, v6, v86
	v_dot2c_f32_f16 v29, v6, v87
	v_cndmask_b32_e64 v5, 0, v107, s0
	v_cvt_f32_f16_e32 v6, v7
	v_cmp_gt_i32_e64 s0, s15, v4
	v_cvt_f32_f16_sdwa v7, v7 dst_sel:DWORD dst_unused:UNUSED_PAD src0_sel:WORD_1
	v_max_f32_e32 v67, 0, v1
	v_cvt_f32_f16_e32 v1, v2
	v_cvt_f32_f16_sdwa v2, v2 dst_sel:DWORD dst_unused:UNUSED_PAD src0_sel:WORD_1
	v_max_f32_e32 v68, 0, v3
	v_cndmask_b32_e64 v3, 0, v105, s2
	s_and_b32 s2, s0, vcc_lo
	v_add_f32_e32 v7, v74, v7
	v_or_b32_e32 v74, 0x42, v83
	v_add_f32_e32 v2, v62, v2
	s_waitcnt vmcnt(5)
	v_cndmask_b32_e64 v62, 0, v108, s2
	s_and_b32 s0, s0, s1
	v_add_f32_e32 v6, v77, v6
	s_waitcnt vmcnt(4)
	v_cndmask_b32_e64 v77, 0, v111, s0
	v_cndmask_b32_e64 v86, 0, v110, s0
	v_cmp_gt_i32_e64 s0, s15, v74
	v_cvt_f32_f16_e32 v87, v62
	v_cvt_f32_f16_sdwa v62, v62 dst_sel:DWORD dst_unused:UNUSED_PAD src0_sel:WORD_1
	v_add_f32_e32 v1, v61, v1
	v_cndmask_b32_e64 v61, 0, v109, s2
	s_and_b32 s2, s0, vcc_lo
	v_cvt_f32_f16_e32 v88, v86
	v_max_f32_e32 v89, 0, v7
	v_add_f32_e32 v7, v56, v87
	v_add_f32_e32 v56, v57, v62
	v_cvt_f32_f16_sdwa v62, v86 dst_sel:DWORD dst_unused:UNUSED_PAD src0_sel:WORD_1
	s_waitcnt vmcnt(3)
	v_cndmask_b32_e64 v86, 0, v112, s2
	s_and_b32 s0, s0, s1
	v_max_f32_e32 v87, 0, v7
	v_add_f32_e32 v57, v72, v88
	v_add_f32_e32 v7, v69, v62
	v_cvt_f32_f16_e32 v62, v86
	v_cvt_f32_f16_sdwa v69, v86 dst_sel:DWORD dst_unused:UNUSED_PAD src0_sel:WORD_1
	v_or_b32_e32 v86, 0x43, v83
	s_waitcnt vmcnt(2)
	v_cndmask_b32_e64 v88, 0, v115, s0
	v_cndmask_b32_e64 v90, 0, v114, s0
	v_max_f32_e32 v91, 0, v7
	v_add_f32_e32 v7, v50, v62
	v_cmp_gt_i32_e64 s0, s15, v86
	v_add_f32_e32 v50, v51, v69
	v_cvt_f32_f16_e32 v51, v90
	v_cvt_f32_f16_sdwa v62, v90 dst_sel:DWORD dst_unused:UNUSED_PAD src0_sel:WORD_1
	v_max_f32_e32 v92, 0, v7
	s_and_b32 vcc_lo, s0, vcc_lo
	v_cvt_f16_f32_e32 v9, v9
	v_add_f32_e32 v7, v63, v51
	v_add_f32_e32 v51, v64, v62
	v_cvt_f16_f32_e32 v13, v13
	v_cndmask_b32_e64 v72, 0, v113, s2
	s_waitcnt vmcnt(0)
	v_cndmask_b32_e32 v90, 0, v116, vcc_lo
	v_cndmask_b32_e32 v69, 0, v117, vcc_lo
	s_and_b32 vcc_lo, s0, s1
	v_max_f32_e32 v93, 0, v7
	v_cndmask_b32_e32 v64, 0, v118, vcc_lo
	v_cvt_f32_f16_e32 v62, v90
	v_cvt_f32_f16_sdwa v90, v90 dst_sel:DWORD dst_unused:UNUSED_PAD src0_sel:WORD_1
	v_cndmask_b32_e32 v63, 0, v119, vcc_lo
	v_cmp_gt_i32_e32 vcc_lo, s33, v82
	v_cmp_gt_i32_e64 s1, s13, v83
	v_add_f32_e32 v7, v48, v62
	v_cvt_f32_f16_e32 v48, v64
	v_cvt_f32_f16_sdwa v62, v8 dst_sel:DWORD dst_unused:UNUSED_PAD src0_sel:WORD_1
	v_cvt_f32_f16_e32 v8, v8
	v_add_f32_e32 v49, v49, v90
	v_max_f32_e32 v90, 0, v7
	v_add_f32_e32 v7, v55, v48
	v_add_f32_e32 v47, v47, v62
	;; [unrolled: 1-line block ×3, first 2 shown]
	v_max_f32_e32 v48, 0, v49
	v_cvt_f32_f16_sdwa v46, v64 dst_sel:DWORD dst_unused:UNUSED_PAD src0_sel:WORD_1
	v_max_f32_e32 v49, 0, v7
	v_mul_lo_u32 v7, v83, s34
	v_max_f32_e32 v8, 0, v8
	v_max_f32_e32 v47, 0, v47
	v_add_f32_e32 v46, v52, v46
	s_and_b32 s0, s1, vcc_lo
	s_lshl_b32 s2, s35, 6
	v_cvt_f16_f32_e32 v52, v8
	v_cvt_f16_f32_e32 v47, v47
	v_mad_u64_u32 v[7:8], null, v82, s35, v[7:8]
	v_pack_b32_f16 v8, v9, v13
	v_cvt_f32_f16_sdwa v13, v11 dst_sel:DWORD dst_unused:UNUSED_PAD src0_sel:WORD_1
	v_cvt_f32_f16_e32 v11, v11
	v_pack_b32_f16 v9, v52, v47
	v_cvt_f16_f32_e32 v47, v65
	s_lshl_b32 s18, s36, 1
	v_add_f32_e32 v13, v45, v13
	v_add_f32_e32 v11, v44, v11
	v_cndmask_b32_e64 v44, 0x80000000, 0, s0
	v_cmp_gt_i32_e64 s0, s33, v10
	v_cvt_f16_f32_e32 v10, v70
	v_max_f32_e32 v13, 0, v13
	v_max_f32_e32 v11, 0, v11
	v_add_nc_u32_e32 v45, s2, v7
	s_and_b32 s1, s1, s0
	v_lshl_add_u32 v44, v7, 1, v44
	v_cvt_f16_f32_e32 v13, v13
	v_cvt_f16_f32_e32 v11, v11
	v_cndmask_b32_e64 v52, 0x80000000, 0, s1
	v_pack_b32_f16 v10, v10, v47
	v_cvt_f32_f16_sdwa v47, v15 dst_sel:DWORD dst_unused:UNUSED_PAD src0_sel:WORD_1
	v_cvt_f32_f16_e32 v15, v15
	v_pack_b32_f16 v11, v11, v13
	v_lshl_add_u32 v13, v45, 1, v52
	buffer_store_dwordx2 v[8:9], v44, s[16:19], 0 offen
	buffer_store_dwordx2 v[10:11], v13, s[16:19], 0 offen
	v_add_f32_e32 v43, v43, v47
	v_add_f32_e32 v8, v42, v15
	v_cmp_gt_i32_e64 s1, s13, v12
	v_cvt_f32_f16_sdwa v12, v14 dst_sel:DWORD dst_unused:UNUSED_PAD src0_sel:WORD_1
	v_cvt_f32_f16_e32 v13, v14
	v_max_f32_e32 v9, 0, v43
	v_max_f32_e32 v8, 0, v8
	s_and_b32 s3, s1, s0
	v_add_nc_u32_e32 v15, s34, v45
	v_cvt_f16_f32_e32 v10, v78
	v_cvt_f16_f32_e32 v11, v75
	v_cvt_f16_f32_e32 v9, v9
	v_cvt_f16_f32_e32 v14, v8
	v_cndmask_b32_e64 v42, 0x80000000, 0, s3
	v_add_f32_e32 v12, v41, v12
	v_add_f32_e32 v13, v40, v13
	v_pack_b32_f16 v8, v10, v11
	v_pack_b32_f16 v9, v14, v9
	v_lshl_add_u32 v14, v15, 1, v42
	v_max_f32_e32 v10, 0, v12
	v_max_f32_e32 v11, 0, v13
	v_cvt_f16_f32_e32 v12, v66
	v_cvt_f16_f32_e32 v13, v76
	v_cvt_f32_f16_sdwa v41, v79 dst_sel:DWORD dst_unused:UNUSED_PAD src0_sel:WORD_1
	v_cvt_f32_f16_e32 v42, v79
	v_cvt_f16_f32_e32 v40, v10
	s_and_b32 s1, s1, vcc_lo
	v_pack_b32_f16 v10, v12, v13
	v_add_f32_e32 v12, v38, v41
	v_add_f32_e32 v13, v37, v42
	v_cndmask_b32_e64 v43, 0x80000000, 0, s1
	v_cmp_gt_i32_e64 s1, s13, v71
	v_add_nc_u32_e32 v7, s34, v7
	v_cvt_f16_f32_e32 v11, v11
	v_max_f32_e32 v12, 0, v12
	v_max_f32_e32 v13, 0, v13
	s_and_b32 s3, s1, vcc_lo
	v_lshl_add_u32 v37, v7, 1, v43
	v_pack_b32_f16 v11, v11, v40
	v_cvt_f16_f32_e32 v38, v59
	v_cvt_f16_f32_e32 v40, v73
	v_cvt_f32_f16_sdwa v43, v80 dst_sel:DWORD dst_unused:UNUSED_PAD src0_sel:WORD_1
	v_add_nc_u32_e32 v7, s34, v7
	v_cvt_f16_f32_e32 v41, v12
	v_cvt_f16_f32_e32 v13, v13
	v_cndmask_b32_e64 v42, 0x80000000, 0, s3
	v_pack_b32_f16 v12, v38, v40
	v_cvt_f32_f16_e32 v38, v80
	v_add_f32_e32 v39, v39, v43
	v_pack_b32_f16 v13, v13, v41
	v_lshl_add_u32 v7, v7, 1, v42
	buffer_store_dwordx2 v[8:9], v14, s[16:19], 0 offen
	v_add_f32_e32 v8, v36, v38
	buffer_store_dwordx2 v[10:11], v37, s[16:19], 0 offen
	buffer_store_dwordx2 v[12:13], v7, s[16:19], 0 offen
	v_max_f32_e32 v7, 0, v39
	v_cvt_f16_f32_e32 v9, v84
	v_max_f32_e32 v8, 0, v8
	v_cvt_f16_f32_e32 v10, v53
	v_cvt_f32_f16_e32 v12, v85
	v_cvt_f16_f32_e32 v11, v7
	v_cvt_f32_f16_sdwa v7, v85 dst_sel:DWORD dst_unused:UNUSED_PAD src0_sel:WORD_1
	v_max_f32_e32 v60, 0, v60
	v_add_nc_u32_e32 v13, s34, v15
	v_cvt_f16_f32_e32 v8, v8
	s_and_b32 s1, s1, s0
	v_add_f32_e32 v15, v35, v7
	v_pack_b32_f16 v7, v9, v10
	v_add_f32_e32 v9, v34, v12
	v_pack_b32_f16 v8, v8, v11
	v_cvt_f16_f32_e32 v11, v67
	v_cvt_f16_f32_e32 v12, v60
	v_cvt_f32_f16_sdwa v34, v58 dst_sel:DWORD dst_unused:UNUSED_PAD src0_sel:WORD_1
	v_max_f32_e32 v9, 0, v9
	v_cvt_f32_f16_e32 v35, v58
	v_cndmask_b32_e64 v14, 0x80000000, 0, s1
	v_max_f32_e32 v10, 0, v15
	v_cmp_gt_i32_e64 s1, s13, v81
	v_cvt_f16_f32_e32 v36, v9
	v_pack_b32_f16 v9, v11, v12
	v_add_f32_e32 v11, v30, v34
	v_add_f32_e32 v12, v28, v35
	v_lshl_add_u32 v14, v13, 1, v14
	v_add_nc_u32_e32 v15, s34, v13
	v_cvt_f16_f32_e32 v10, v10
	v_max_f32_e32 v11, 0, v11
	v_max_f32_e32 v12, 0, v12
	v_cvt_f16_f32_e32 v34, v54
	v_cvt_f16_f32_e32 v35, v68
	s_and_b32 s3, s1, s0
	s_and_b32 s1, s1, vcc_lo
	v_pack_b32_f16 v10, v36, v10
	v_cndmask_b32_e64 v28, 0x80000000, 0, s3
	v_subrev_nc_u32_e32 v30, s2, v15
	v_cvt_f16_f32_e32 v36, v11
	v_cvt_f16_f32_e32 v12, v12
	v_cndmask_b32_e64 v37, 0x80000000, 0, s1
	v_pack_b32_f16 v11, v34, v35
	v_cvt_f32_f16_sdwa v34, v69 dst_sel:DWORD dst_unused:UNUSED_PAD src0_sel:WORD_1
	buffer_store_dwordx2 v[7:8], v14, s[16:19], 0 offen
	v_cvt_f32_f16_e32 v7, v69
	v_lshl_add_u32 v28, v15, 1, v28
	v_pack_b32_f16 v12, v12, v36
	v_lshl_add_u32 v35, v30, 1, v37
	v_add_f32_e32 v8, v32, v34
	v_add_f32_e32 v7, v31, v7
	v_cmp_gt_i32_e64 s1, s13, v86
	buffer_store_dwordx2 v[9:10], v28, s[16:19], 0 offen
	buffer_store_dwordx2 v[11:12], v35, s[16:19], 0 offen
	v_max_f32_e32 v8, 0, v8
	v_max_f32_e32 v7, 0, v7
	v_cvt_f32_f16_sdwa v12, v63 dst_sel:DWORD dst_unused:UNUSED_PAD src0_sel:WORD_1
	v_cvt_f32_f16_e32 v14, v63
	s_lshl_b32 s3, s34, 6
	s_and_b32 s4, s1, vcc_lo
	v_max_f32_e32 v46, 0, v46
	v_add_nc_u32_e32 v9, s3, v30
	v_cvt_f16_f32_e32 v10, v90
	v_cvt_f16_f32_e32 v11, v48
	;; [unrolled: 1-line block ×4, first 2 shown]
	v_cndmask_b32_e64 v30, 0x80000000, 0, s4
	v_add_f32_e32 v12, v24, v12
	v_add_f32_e32 v14, v33, v14
	v_pack_b32_f16 v7, v10, v11
	v_pack_b32_f16 v8, v28, v8
	v_lshl_add_u32 v24, v9, 1, v30
	v_max_f32_e32 v9, 0, v12
	v_max_f32_e32 v10, 0, v14
	v_cvt_f16_f32_e32 v12, v49
	v_cvt_f16_f32_e32 v14, v46
	v_cvt_f32_f16_sdwa v28, v88 dst_sel:DWORD dst_unused:UNUSED_PAD src0_sel:WORD_1
	v_cvt_f32_f16_e32 v30, v88
	s_and_b32 s1, s1, s0
	v_max_f32_e32 v51, 0, v51
	v_add_nc_u32_e32 v11, s3, v15
	v_cvt_f16_f32_e32 v15, v9
	v_cvt_f16_f32_e32 v10, v10
	v_cndmask_b32_e64 v31, 0x80000000, 0, s1
	v_pack_b32_f16 v9, v12, v14
	v_add_f32_e32 v12, v29, v28
	v_add_f32_e32 v14, v27, v30
	v_cmp_ge_i32_e64 s1, s13, v86
	v_pack_b32_f16 v10, v10, v15
	v_lshl_add_u32 v15, v11, 1, v31
	v_max_f32_e32 v11, 0, v12
	v_max_f32_e32 v12, 0, v14
	v_cvt_f16_f32_e32 v14, v93
	v_cvt_f16_f32_e32 v27, v51
	s_and_b32 s1, s1, s0
	v_cvt_f16_f32_e32 v28, v11
	v_add_nc_u32_e32 v13, s3, v13
	v_cvt_f16_f32_e32 v12, v12
	v_pack_b32_f16 v11, v14, v27
	v_cvt_f32_f16_sdwa v14, v72 dst_sel:DWORD dst_unused:UNUSED_PAD src0_sel:WORD_1
	v_cndmask_b32_e64 v29, 0x80000000, 0, s1
	v_max_f32_e32 v50, 0, v50
	buffer_store_dwordx2 v[7:8], v24, s[16:19], 0 offen
	v_pack_b32_f16 v12, v12, v28
	v_add_f32_e32 v7, v26, v14
	v_lshl_add_u32 v28, v13, 1, v29
	v_cmp_gt_i32_e64 s1, s13, v74
	buffer_store_dwordx2 v[9:10], v15, s[16:19], 0 offen
	buffer_store_dwordx2 v[11:12], v28, s[16:19], 0 offen
	v_subrev_nc_u32_e32 v9, s2, v13
	v_max_f32_e32 v7, 0, v7
	v_cvt_f16_f32_e32 v10, v92
	v_cvt_f16_f32_e32 v11, v50
	v_cvt_f32_f16_e32 v13, v61
	v_cvt_f32_f16_sdwa v14, v61 dst_sel:DWORD dst_unused:UNUSED_PAD src0_sel:WORD_1
	s_and_b32 s1, s1, vcc_lo
	v_cvt_f32_f16_e32 v27, v72
	v_cvt_f16_f32_e32 v12, v7
	v_cndmask_b32_e64 v15, 0x80000000, 0, s1
	v_pack_b32_f16 v7, v10, v11
	v_add_f32_e32 v10, v21, v14
	v_add_f32_e32 v11, v20, v13
	;; [unrolled: 1-line block ×3, first 2 shown]
	v_lshl_add_u32 v13, v9, 1, v15
	v_cvt_f32_f16_e32 v14, v77
	v_max_f32_e32 v10, 0, v10
	v_max_f32_e32 v11, 0, v11
	v_cvt_f32_f16_sdwa v15, v77 dst_sel:DWORD dst_unused:UNUSED_PAD src0_sel:WORD_1
	v_max_f32_e32 v8, 0, v8
	v_add_f32_e32 v14, v22, v14
	v_cvt_f16_f32_e32 v10, v10
	v_cvt_f16_f32_e32 v11, v11
	v_add_f32_e32 v15, v23, v15
	v_cmp_ge_i32_e64 s1, s13, v74
	v_max_f32_e32 v56, 0, v56
	v_cvt_f16_f32_e32 v8, v8
	v_pack_b32_f16 v10, v11, v10
	v_max_f32_e32 v11, 0, v14
	v_max_f32_e32 v14, 0, v15
	s_and_b32 s1, s1, vcc_lo
	v_max_f32_e32 v57, 0, v57
	v_pack_b32_f16 v8, v8, v12
	v_subrev_nc_u32_e32 v12, s34, v9
	v_cvt_f16_f32_e32 v9, v87
	v_cvt_f16_f32_e32 v20, v56
	v_cndmask_b32_e64 v15, 0x80000000, 0, s1
	v_cvt_f16_f32_e32 v14, v14
	v_cvt_f16_f32_e32 v22, v11
	v_max_f32_e32 v6, 0, v6
	v_pack_b32_f16 v9, v9, v20
	v_cvt_f16_f32_e32 v20, v57
	v_cvt_f16_f32_e32 v21, v91
	v_lshl_add_u32 v15, v12, 1, v15
	v_add_nc_u32_e32 v23, s2, v12
	v_pack_b32_f16 v12, v22, v14
	v_cvt_f32_f16_e32 v14, v5
	v_cvt_f32_f16_sdwa v5, v5 dst_sel:DWORD dst_unused:UNUSED_PAD src0_sel:WORD_1
	v_cmp_gt_i32_e64 s1, s13, v4
	v_pack_b32_f16 v11, v20, v21
	v_cvt_f16_f32_e32 v6, v6
	v_cvt_f16_f32_e32 v21, v89
	v_add_f32_e32 v19, v19, v5
	v_add_f32_e32 v14, v18, v14
	s_and_b32 s1, s1, s0
	v_max_f32_e32 v1, 0, v1
	v_pack_b32_f16 v5, v6, v21
	v_max_f32_e32 v6, 0, v19
	v_max_f32_e32 v14, 0, v14
	v_cvt_f32_f16_sdwa v19, v3 dst_sel:DWORD dst_unused:UNUSED_PAD src0_sel:WORD_1
	v_cvt_f32_f16_e32 v3, v3
	v_cndmask_b32_e64 v20, 0x80000000, 0, s1
	v_cmp_ge_i32_e64 s1, s13, v4
	v_cvt_f16_f32_e32 v4, v6
	v_cvt_f16_f32_e32 v6, v14
	v_add_f32_e32 v14, v17, v19
	v_add_f32_e32 v3, v16, v3
	s_and_b32 s0, s1, s0
	v_max_f32_e32 v2, 0, v2
	v_cndmask_b32_e64 v16, 0x80000000, 0, s0
	v_cmp_gt_i32_e64 s0, s13, v0
	v_lshl_add_u32 v18, v23, 1, v20
	v_subrev_nc_u32_e32 v20, s34, v23
	v_max_f32_e32 v14, 0, v14
	v_max_f32_e32 v3, 0, v3
	s_and_b32 s0, s0, vcc_lo
	v_cvt_f16_f32_e32 v0, v1
	v_subrev_nc_u32_e32 v17, s2, v20
	v_cvt_f16_f32_e32 v1, v2
	v_cvt_f16_f32_e32 v2, v14
	;; [unrolled: 1-line block ×3, first 2 shown]
	v_cndmask_b32_e64 v14, 0x80000000, 0, s0
	v_pack_b32_f16 v6, v6, v4
	v_lshl_add_u32 v4, v20, 1, v16
	v_pack_b32_f16 v0, v0, v1
	v_pack_b32_f16 v1, v3, v2
	v_lshl_add_u32 v2, v17, 1, v14
	buffer_store_dwordx2 v[7:8], v13, s[16:19], 0 offen
	buffer_store_dwordx2 v[9:10], v15, s[16:19], 0 offen
	;; [unrolled: 1-line block ×5, first 2 shown]
	s_endpgm
	.section	.rodata,"a",@progbits
	.p2align	6, 0x0
	.amdhsa_kernel _ZN2ck16tensor_operation6device12_GLOBAL__N_137kernel_grouped_conv_fwd_dl_multiple_dINS_32GridwiseGemmDlMultipleD_km_kn_mnILi256EDF16_fNS_5TupleIJDF16_EEEDF16_NS0_12element_wise11PassThroughES8_NS7_7AddReluELNS_25InMemoryDataOperationEnumE0ENS_16TensorDescriptorINS5_IJNS_5EmbedINS5_IJiiiEEESD_Lb0EEENS_11PassThroughIiEENS_3PadIiiiLb0EEESG_SG_NSC_INS5_IJiiEEESJ_Lb0EEESG_NS_23Merge_v2_magic_divisionISJ_EESM_NS_8RightPadIiiLb0EEESO_NS_7UnMergeISJ_Lb0EEESG_EEENS5_IJNS_8SequenceIJLi0EEEENSS_IJLi1EEEENSS_IJLi2EEEENSS_IJLi3EEEENSS_IJLi4EEEENSS_IJLi5EEEENSS_IJLi6EEEENSS_IJLi7ELi9EEEENSS_IJLi8ELi10EEEENSS_IJLi11EEEENSS_IJLi12EEEENSS_IJLi14EEEENSS_IJLi13EEEEEEENS5_IJNSS_IJLi1ELi2ELi3EEEESX_SY_SZ_NSS_IJLi7EEEENSS_IJLi8ELi9EEEENSS_IJLi10EEEES12_S13_S15_S14_NSS_IJLi15ELi16EEEENSS_IJLi17EEEEEEENSS_IJLi15ELi17ELi16EEEElEENSB_INS5_IJSQ_SO_SO_SQ_SG_EEENS5_IJST_SU_SV_SX_SW_EEENS5_IJNSS_IJLi1ELi2EEEESW_SX_NSS_IJLi5ELi6EEEES18_EEENSS_IJLi5ELi7ELi6EEEElEENSB_INS5_IJSK_SO_SO_EEENS5_IJST_SU_SV_EEENS5_IJS1I_SW_SX_EEENSS_IJLi3ELi4EEEElEELi128ELi128ELi16ELi2ELi4ELi4ELi1ENSS_IJLi8ELi2EEEES1S_NSS_IJLi8ELi1ELi1ELi2EEEENSS_IJLi2ELi1ELi128ELi1EEEENSS_IJLi1ELi2ELi0ELi3EEEES1V_NSS_IJLi4ELi1ELi1ELi2EEEES1V_NSS_IJLi1ELi1ELi1ELi2EEEES1T_S1U_S1V_S1V_S1W_S1V_S1X_NSS_IJLi0ELi1ELi2ELi3ELi4ELi5EEEELi5ELi4EEEDF16_NS5_IJPKDF16_EEEDF16_S8_S8_S9_NSB_INS5_IJSE_SG_SI_SG_SG_SK_SG_SM_SM_SO_SO_SQ_SG_SG_NSP_INS5_IJiNS_17integral_constantIiLi128EEEEEELb0EEENSF_INS23_IiLi2EEEEEEEENS5_IJST_SU_SV_SW_SX_SY_SZ_S10_S11_S12_S13_S14_S15_NSS_IJLi15EEEES1C_NSS_IJLi16EEEEEEENS5_IJS17_SX_SY_SZ_S18_S19_S1A_S12_S13_S15_S14_S1B_S1C_NSS_IJLi18EEEENSS_IJLi19ELi20EEEENSS_IJLi21EEEEEEENSS_IJLi18ELi19ELi20ELi21EEEElEENSB_INS5_IJSQ_SO_SO_SQ_SG_SG_S26_S28_EEENS5_IJST_SU_SV_SX_SW_SY_S18_SZ_EEENS5_IJS1I_SW_SX_S1J_S18_NSS_IJLi8EEEENSS_IJLi9ELi10EEEES12_EEENSS_IJLi8ELi9ELi10ELi11EEEElEENS5_IJNSB_INS5_IJSK_SO_SO_NSP_INS5_IJiS27_NS23_IiLi64EEEEEELb0EEES2S_EEENS5_IJST_SU_SV_SW_SX_EEENS5_IJS1I_SW_SX_NSS_IJLi5ELi6ELi7EEEENSS_IJLi8ELi9ELi10EEEEEEENSS_IJLi5ELi6ELi7ELi8ELi9ELi10EEEElEEEEES2Z_NS_31BlockToCTileMap_M00_N00_M01_N01ILi128ELi128ES1R_Lb0EEENS1_30ComputePtrOffsetOfStridedBatchILi1ELi1ELi1EvEELb0ELb1EEEvPKT0_S37_T1_PT2_T3_T4_T5_iT6_T7_T8_T9_T10_T11_
		.amdhsa_group_segment_fixed_size 32768
		.amdhsa_private_segment_fixed_size 0
		.amdhsa_kernarg_size 904
		.amdhsa_user_sgpr_count 6
		.amdhsa_user_sgpr_private_segment_buffer 1
		.amdhsa_user_sgpr_dispatch_ptr 0
		.amdhsa_user_sgpr_queue_ptr 0
		.amdhsa_user_sgpr_kernarg_segment_ptr 1
		.amdhsa_user_sgpr_dispatch_id 0
		.amdhsa_user_sgpr_flat_scratch_init 0
		.amdhsa_user_sgpr_private_segment_size 0
		.amdhsa_wavefront_size32 1
		.amdhsa_uses_dynamic_stack 0
		.amdhsa_system_sgpr_private_segment_wavefront_offset 0
		.amdhsa_system_sgpr_workgroup_id_x 1
		.amdhsa_system_sgpr_workgroup_id_y 0
		.amdhsa_system_sgpr_workgroup_id_z 0
		.amdhsa_system_sgpr_workgroup_info 0
		.amdhsa_system_vgpr_workitem_id 0
		.amdhsa_next_free_vgpr 121
		.amdhsa_next_free_sgpr 48
		.amdhsa_reserve_vcc 1
		.amdhsa_reserve_flat_scratch 0
		.amdhsa_float_round_mode_32 0
		.amdhsa_float_round_mode_16_64 0
		.amdhsa_float_denorm_mode_32 3
		.amdhsa_float_denorm_mode_16_64 3
		.amdhsa_dx10_clamp 1
		.amdhsa_ieee_mode 1
		.amdhsa_fp16_overflow 0
		.amdhsa_workgroup_processor_mode 1
		.amdhsa_memory_ordered 1
		.amdhsa_forward_progress 1
		.amdhsa_shared_vgpr_count 0
		.amdhsa_exception_fp_ieee_invalid_op 0
		.amdhsa_exception_fp_denorm_src 0
		.amdhsa_exception_fp_ieee_div_zero 0
		.amdhsa_exception_fp_ieee_overflow 0
		.amdhsa_exception_fp_ieee_underflow 0
		.amdhsa_exception_fp_ieee_inexact 0
		.amdhsa_exception_int_div_zero 0
	.end_amdhsa_kernel
	.section	.text._ZN2ck16tensor_operation6device12_GLOBAL__N_137kernel_grouped_conv_fwd_dl_multiple_dINS_32GridwiseGemmDlMultipleD_km_kn_mnILi256EDF16_fNS_5TupleIJDF16_EEEDF16_NS0_12element_wise11PassThroughES8_NS7_7AddReluELNS_25InMemoryDataOperationEnumE0ENS_16TensorDescriptorINS5_IJNS_5EmbedINS5_IJiiiEEESD_Lb0EEENS_11PassThroughIiEENS_3PadIiiiLb0EEESG_SG_NSC_INS5_IJiiEEESJ_Lb0EEESG_NS_23Merge_v2_magic_divisionISJ_EESM_NS_8RightPadIiiLb0EEESO_NS_7UnMergeISJ_Lb0EEESG_EEENS5_IJNS_8SequenceIJLi0EEEENSS_IJLi1EEEENSS_IJLi2EEEENSS_IJLi3EEEENSS_IJLi4EEEENSS_IJLi5EEEENSS_IJLi6EEEENSS_IJLi7ELi9EEEENSS_IJLi8ELi10EEEENSS_IJLi11EEEENSS_IJLi12EEEENSS_IJLi14EEEENSS_IJLi13EEEEEEENS5_IJNSS_IJLi1ELi2ELi3EEEESX_SY_SZ_NSS_IJLi7EEEENSS_IJLi8ELi9EEEENSS_IJLi10EEEES12_S13_S15_S14_NSS_IJLi15ELi16EEEENSS_IJLi17EEEEEEENSS_IJLi15ELi17ELi16EEEElEENSB_INS5_IJSQ_SO_SO_SQ_SG_EEENS5_IJST_SU_SV_SX_SW_EEENS5_IJNSS_IJLi1ELi2EEEESW_SX_NSS_IJLi5ELi6EEEES18_EEENSS_IJLi5ELi7ELi6EEEElEENSB_INS5_IJSK_SO_SO_EEENS5_IJST_SU_SV_EEENS5_IJS1I_SW_SX_EEENSS_IJLi3ELi4EEEElEELi128ELi128ELi16ELi2ELi4ELi4ELi1ENSS_IJLi8ELi2EEEES1S_NSS_IJLi8ELi1ELi1ELi2EEEENSS_IJLi2ELi1ELi128ELi1EEEENSS_IJLi1ELi2ELi0ELi3EEEES1V_NSS_IJLi4ELi1ELi1ELi2EEEES1V_NSS_IJLi1ELi1ELi1ELi2EEEES1T_S1U_S1V_S1V_S1W_S1V_S1X_NSS_IJLi0ELi1ELi2ELi3ELi4ELi5EEEELi5ELi4EEEDF16_NS5_IJPKDF16_EEEDF16_S8_S8_S9_NSB_INS5_IJSE_SG_SI_SG_SG_SK_SG_SM_SM_SO_SO_SQ_SG_SG_NSP_INS5_IJiNS_17integral_constantIiLi128EEEEEELb0EEENSF_INS23_IiLi2EEEEEEEENS5_IJST_SU_SV_SW_SX_SY_SZ_S10_S11_S12_S13_S14_S15_NSS_IJLi15EEEES1C_NSS_IJLi16EEEEEEENS5_IJS17_SX_SY_SZ_S18_S19_S1A_S12_S13_S15_S14_S1B_S1C_NSS_IJLi18EEEENSS_IJLi19ELi20EEEENSS_IJLi21EEEEEEENSS_IJLi18ELi19ELi20ELi21EEEElEENSB_INS5_IJSQ_SO_SO_SQ_SG_SG_S26_S28_EEENS5_IJST_SU_SV_SX_SW_SY_S18_SZ_EEENS5_IJS1I_SW_SX_S1J_S18_NSS_IJLi8EEEENSS_IJLi9ELi10EEEES12_EEENSS_IJLi8ELi9ELi10ELi11EEEElEENS5_IJNSB_INS5_IJSK_SO_SO_NSP_INS5_IJiS27_NS23_IiLi64EEEEEELb0EEES2S_EEENS5_IJST_SU_SV_SW_SX_EEENS5_IJS1I_SW_SX_NSS_IJLi5ELi6ELi7EEEENSS_IJLi8ELi9ELi10EEEEEEENSS_IJLi5ELi6ELi7ELi8ELi9ELi10EEEElEEEEES2Z_NS_31BlockToCTileMap_M00_N00_M01_N01ILi128ELi128ES1R_Lb0EEENS1_30ComputePtrOffsetOfStridedBatchILi1ELi1ELi1EvEELb0ELb1EEEvPKT0_S37_T1_PT2_T3_T4_T5_iT6_T7_T8_T9_T10_T11_,"axG",@progbits,_ZN2ck16tensor_operation6device12_GLOBAL__N_137kernel_grouped_conv_fwd_dl_multiple_dINS_32GridwiseGemmDlMultipleD_km_kn_mnILi256EDF16_fNS_5TupleIJDF16_EEEDF16_NS0_12element_wise11PassThroughES8_NS7_7AddReluELNS_25InMemoryDataOperationEnumE0ENS_16TensorDescriptorINS5_IJNS_5EmbedINS5_IJiiiEEESD_Lb0EEENS_11PassThroughIiEENS_3PadIiiiLb0EEESG_SG_NSC_INS5_IJiiEEESJ_Lb0EEESG_NS_23Merge_v2_magic_divisionISJ_EESM_NS_8RightPadIiiLb0EEESO_NS_7UnMergeISJ_Lb0EEESG_EEENS5_IJNS_8SequenceIJLi0EEEENSS_IJLi1EEEENSS_IJLi2EEEENSS_IJLi3EEEENSS_IJLi4EEEENSS_IJLi5EEEENSS_IJLi6EEEENSS_IJLi7ELi9EEEENSS_IJLi8ELi10EEEENSS_IJLi11EEEENSS_IJLi12EEEENSS_IJLi14EEEENSS_IJLi13EEEEEEENS5_IJNSS_IJLi1ELi2ELi3EEEESX_SY_SZ_NSS_IJLi7EEEENSS_IJLi8ELi9EEEENSS_IJLi10EEEES12_S13_S15_S14_NSS_IJLi15ELi16EEEENSS_IJLi17EEEEEEENSS_IJLi15ELi17ELi16EEEElEENSB_INS5_IJSQ_SO_SO_SQ_SG_EEENS5_IJST_SU_SV_SX_SW_EEENS5_IJNSS_IJLi1ELi2EEEESW_SX_NSS_IJLi5ELi6EEEES18_EEENSS_IJLi5ELi7ELi6EEEElEENSB_INS5_IJSK_SO_SO_EEENS5_IJST_SU_SV_EEENS5_IJS1I_SW_SX_EEENSS_IJLi3ELi4EEEElEELi128ELi128ELi16ELi2ELi4ELi4ELi1ENSS_IJLi8ELi2EEEES1S_NSS_IJLi8ELi1ELi1ELi2EEEENSS_IJLi2ELi1ELi128ELi1EEEENSS_IJLi1ELi2ELi0ELi3EEEES1V_NSS_IJLi4ELi1ELi1ELi2EEEES1V_NSS_IJLi1ELi1ELi1ELi2EEEES1T_S1U_S1V_S1V_S1W_S1V_S1X_NSS_IJLi0ELi1ELi2ELi3ELi4ELi5EEEELi5ELi4EEEDF16_NS5_IJPKDF16_EEEDF16_S8_S8_S9_NSB_INS5_IJSE_SG_SI_SG_SG_SK_SG_SM_SM_SO_SO_SQ_SG_SG_NSP_INS5_IJiNS_17integral_constantIiLi128EEEEEELb0EEENSF_INS23_IiLi2EEEEEEEENS5_IJST_SU_SV_SW_SX_SY_SZ_S10_S11_S12_S13_S14_S15_NSS_IJLi15EEEES1C_NSS_IJLi16EEEEEEENS5_IJS17_SX_SY_SZ_S18_S19_S1A_S12_S13_S15_S14_S1B_S1C_NSS_IJLi18EEEENSS_IJLi19ELi20EEEENSS_IJLi21EEEEEEENSS_IJLi18ELi19ELi20ELi21EEEElEENSB_INS5_IJSQ_SO_SO_SQ_SG_SG_S26_S28_EEENS5_IJST_SU_SV_SX_SW_SY_S18_SZ_EEENS5_IJS1I_SW_SX_S1J_S18_NSS_IJLi8EEEENSS_IJLi9ELi10EEEES12_EEENSS_IJLi8ELi9ELi10ELi11EEEElEENS5_IJNSB_INS5_IJSK_SO_SO_NSP_INS5_IJiS27_NS23_IiLi64EEEEEELb0EEES2S_EEENS5_IJST_SU_SV_SW_SX_EEENS5_IJS1I_SW_SX_NSS_IJLi5ELi6ELi7EEEENSS_IJLi8ELi9ELi10EEEEEEENSS_IJLi5ELi6ELi7ELi8ELi9ELi10EEEElEEEEES2Z_NS_31BlockToCTileMap_M00_N00_M01_N01ILi128ELi128ES1R_Lb0EEENS1_30ComputePtrOffsetOfStridedBatchILi1ELi1ELi1EvEELb0ELb1EEEvPKT0_S37_T1_PT2_T3_T4_T5_iT6_T7_T8_T9_T10_T11_,comdat
.Lfunc_end3:
	.size	_ZN2ck16tensor_operation6device12_GLOBAL__N_137kernel_grouped_conv_fwd_dl_multiple_dINS_32GridwiseGemmDlMultipleD_km_kn_mnILi256EDF16_fNS_5TupleIJDF16_EEEDF16_NS0_12element_wise11PassThroughES8_NS7_7AddReluELNS_25InMemoryDataOperationEnumE0ENS_16TensorDescriptorINS5_IJNS_5EmbedINS5_IJiiiEEESD_Lb0EEENS_11PassThroughIiEENS_3PadIiiiLb0EEESG_SG_NSC_INS5_IJiiEEESJ_Lb0EEESG_NS_23Merge_v2_magic_divisionISJ_EESM_NS_8RightPadIiiLb0EEESO_NS_7UnMergeISJ_Lb0EEESG_EEENS5_IJNS_8SequenceIJLi0EEEENSS_IJLi1EEEENSS_IJLi2EEEENSS_IJLi3EEEENSS_IJLi4EEEENSS_IJLi5EEEENSS_IJLi6EEEENSS_IJLi7ELi9EEEENSS_IJLi8ELi10EEEENSS_IJLi11EEEENSS_IJLi12EEEENSS_IJLi14EEEENSS_IJLi13EEEEEEENS5_IJNSS_IJLi1ELi2ELi3EEEESX_SY_SZ_NSS_IJLi7EEEENSS_IJLi8ELi9EEEENSS_IJLi10EEEES12_S13_S15_S14_NSS_IJLi15ELi16EEEENSS_IJLi17EEEEEEENSS_IJLi15ELi17ELi16EEEElEENSB_INS5_IJSQ_SO_SO_SQ_SG_EEENS5_IJST_SU_SV_SX_SW_EEENS5_IJNSS_IJLi1ELi2EEEESW_SX_NSS_IJLi5ELi6EEEES18_EEENSS_IJLi5ELi7ELi6EEEElEENSB_INS5_IJSK_SO_SO_EEENS5_IJST_SU_SV_EEENS5_IJS1I_SW_SX_EEENSS_IJLi3ELi4EEEElEELi128ELi128ELi16ELi2ELi4ELi4ELi1ENSS_IJLi8ELi2EEEES1S_NSS_IJLi8ELi1ELi1ELi2EEEENSS_IJLi2ELi1ELi128ELi1EEEENSS_IJLi1ELi2ELi0ELi3EEEES1V_NSS_IJLi4ELi1ELi1ELi2EEEES1V_NSS_IJLi1ELi1ELi1ELi2EEEES1T_S1U_S1V_S1V_S1W_S1V_S1X_NSS_IJLi0ELi1ELi2ELi3ELi4ELi5EEEELi5ELi4EEEDF16_NS5_IJPKDF16_EEEDF16_S8_S8_S9_NSB_INS5_IJSE_SG_SI_SG_SG_SK_SG_SM_SM_SO_SO_SQ_SG_SG_NSP_INS5_IJiNS_17integral_constantIiLi128EEEEEELb0EEENSF_INS23_IiLi2EEEEEEEENS5_IJST_SU_SV_SW_SX_SY_SZ_S10_S11_S12_S13_S14_S15_NSS_IJLi15EEEES1C_NSS_IJLi16EEEEEEENS5_IJS17_SX_SY_SZ_S18_S19_S1A_S12_S13_S15_S14_S1B_S1C_NSS_IJLi18EEEENSS_IJLi19ELi20EEEENSS_IJLi21EEEEEEENSS_IJLi18ELi19ELi20ELi21EEEElEENSB_INS5_IJSQ_SO_SO_SQ_SG_SG_S26_S28_EEENS5_IJST_SU_SV_SX_SW_SY_S18_SZ_EEENS5_IJS1I_SW_SX_S1J_S18_NSS_IJLi8EEEENSS_IJLi9ELi10EEEES12_EEENSS_IJLi8ELi9ELi10ELi11EEEElEENS5_IJNSB_INS5_IJSK_SO_SO_NSP_INS5_IJiS27_NS23_IiLi64EEEEEELb0EEES2S_EEENS5_IJST_SU_SV_SW_SX_EEENS5_IJS1I_SW_SX_NSS_IJLi5ELi6ELi7EEEENSS_IJLi8ELi9ELi10EEEEEEENSS_IJLi5ELi6ELi7ELi8ELi9ELi10EEEElEEEEES2Z_NS_31BlockToCTileMap_M00_N00_M01_N01ILi128ELi128ES1R_Lb0EEENS1_30ComputePtrOffsetOfStridedBatchILi1ELi1ELi1EvEELb0ELb1EEEvPKT0_S37_T1_PT2_T3_T4_T5_iT6_T7_T8_T9_T10_T11_, .Lfunc_end3-_ZN2ck16tensor_operation6device12_GLOBAL__N_137kernel_grouped_conv_fwd_dl_multiple_dINS_32GridwiseGemmDlMultipleD_km_kn_mnILi256EDF16_fNS_5TupleIJDF16_EEEDF16_NS0_12element_wise11PassThroughES8_NS7_7AddReluELNS_25InMemoryDataOperationEnumE0ENS_16TensorDescriptorINS5_IJNS_5EmbedINS5_IJiiiEEESD_Lb0EEENS_11PassThroughIiEENS_3PadIiiiLb0EEESG_SG_NSC_INS5_IJiiEEESJ_Lb0EEESG_NS_23Merge_v2_magic_divisionISJ_EESM_NS_8RightPadIiiLb0EEESO_NS_7UnMergeISJ_Lb0EEESG_EEENS5_IJNS_8SequenceIJLi0EEEENSS_IJLi1EEEENSS_IJLi2EEEENSS_IJLi3EEEENSS_IJLi4EEEENSS_IJLi5EEEENSS_IJLi6EEEENSS_IJLi7ELi9EEEENSS_IJLi8ELi10EEEENSS_IJLi11EEEENSS_IJLi12EEEENSS_IJLi14EEEENSS_IJLi13EEEEEEENS5_IJNSS_IJLi1ELi2ELi3EEEESX_SY_SZ_NSS_IJLi7EEEENSS_IJLi8ELi9EEEENSS_IJLi10EEEES12_S13_S15_S14_NSS_IJLi15ELi16EEEENSS_IJLi17EEEEEEENSS_IJLi15ELi17ELi16EEEElEENSB_INS5_IJSQ_SO_SO_SQ_SG_EEENS5_IJST_SU_SV_SX_SW_EEENS5_IJNSS_IJLi1ELi2EEEESW_SX_NSS_IJLi5ELi6EEEES18_EEENSS_IJLi5ELi7ELi6EEEElEENSB_INS5_IJSK_SO_SO_EEENS5_IJST_SU_SV_EEENS5_IJS1I_SW_SX_EEENSS_IJLi3ELi4EEEElEELi128ELi128ELi16ELi2ELi4ELi4ELi1ENSS_IJLi8ELi2EEEES1S_NSS_IJLi8ELi1ELi1ELi2EEEENSS_IJLi2ELi1ELi128ELi1EEEENSS_IJLi1ELi2ELi0ELi3EEEES1V_NSS_IJLi4ELi1ELi1ELi2EEEES1V_NSS_IJLi1ELi1ELi1ELi2EEEES1T_S1U_S1V_S1V_S1W_S1V_S1X_NSS_IJLi0ELi1ELi2ELi3ELi4ELi5EEEELi5ELi4EEEDF16_NS5_IJPKDF16_EEEDF16_S8_S8_S9_NSB_INS5_IJSE_SG_SI_SG_SG_SK_SG_SM_SM_SO_SO_SQ_SG_SG_NSP_INS5_IJiNS_17integral_constantIiLi128EEEEEELb0EEENSF_INS23_IiLi2EEEEEEEENS5_IJST_SU_SV_SW_SX_SY_SZ_S10_S11_S12_S13_S14_S15_NSS_IJLi15EEEES1C_NSS_IJLi16EEEEEEENS5_IJS17_SX_SY_SZ_S18_S19_S1A_S12_S13_S15_S14_S1B_S1C_NSS_IJLi18EEEENSS_IJLi19ELi20EEEENSS_IJLi21EEEEEEENSS_IJLi18ELi19ELi20ELi21EEEElEENSB_INS5_IJSQ_SO_SO_SQ_SG_SG_S26_S28_EEENS5_IJST_SU_SV_SX_SW_SY_S18_SZ_EEENS5_IJS1I_SW_SX_S1J_S18_NSS_IJLi8EEEENSS_IJLi9ELi10EEEES12_EEENSS_IJLi8ELi9ELi10ELi11EEEElEENS5_IJNSB_INS5_IJSK_SO_SO_NSP_INS5_IJiS27_NS23_IiLi64EEEEEELb0EEES2S_EEENS5_IJST_SU_SV_SW_SX_EEENS5_IJS1I_SW_SX_NSS_IJLi5ELi6ELi7EEEENSS_IJLi8ELi9ELi10EEEEEEENSS_IJLi5ELi6ELi7ELi8ELi9ELi10EEEElEEEEES2Z_NS_31BlockToCTileMap_M00_N00_M01_N01ILi128ELi128ES1R_Lb0EEENS1_30ComputePtrOffsetOfStridedBatchILi1ELi1ELi1EvEELb0ELb1EEEvPKT0_S37_T1_PT2_T3_T4_T5_iT6_T7_T8_T9_T10_T11_
                                        ; -- End function
	.set _ZN2ck16tensor_operation6device12_GLOBAL__N_137kernel_grouped_conv_fwd_dl_multiple_dINS_32GridwiseGemmDlMultipleD_km_kn_mnILi256EDF16_fNS_5TupleIJDF16_EEEDF16_NS0_12element_wise11PassThroughES8_NS7_7AddReluELNS_25InMemoryDataOperationEnumE0ENS_16TensorDescriptorINS5_IJNS_5EmbedINS5_IJiiiEEESD_Lb0EEENS_11PassThroughIiEENS_3PadIiiiLb0EEESG_SG_NSC_INS5_IJiiEEESJ_Lb0EEESG_NS_23Merge_v2_magic_divisionISJ_EESM_NS_8RightPadIiiLb0EEESO_NS_7UnMergeISJ_Lb0EEESG_EEENS5_IJNS_8SequenceIJLi0EEEENSS_IJLi1EEEENSS_IJLi2EEEENSS_IJLi3EEEENSS_IJLi4EEEENSS_IJLi5EEEENSS_IJLi6EEEENSS_IJLi7ELi9EEEENSS_IJLi8ELi10EEEENSS_IJLi11EEEENSS_IJLi12EEEENSS_IJLi14EEEENSS_IJLi13EEEEEEENS5_IJNSS_IJLi1ELi2ELi3EEEESX_SY_SZ_NSS_IJLi7EEEENSS_IJLi8ELi9EEEENSS_IJLi10EEEES12_S13_S15_S14_NSS_IJLi15ELi16EEEENSS_IJLi17EEEEEEENSS_IJLi15ELi17ELi16EEEElEENSB_INS5_IJSQ_SO_SO_SQ_SG_EEENS5_IJST_SU_SV_SX_SW_EEENS5_IJNSS_IJLi1ELi2EEEESW_SX_NSS_IJLi5ELi6EEEES18_EEENSS_IJLi5ELi7ELi6EEEElEENSB_INS5_IJSK_SO_SO_EEENS5_IJST_SU_SV_EEENS5_IJS1I_SW_SX_EEENSS_IJLi3ELi4EEEElEELi128ELi128ELi16ELi2ELi4ELi4ELi1ENSS_IJLi8ELi2EEEES1S_NSS_IJLi8ELi1ELi1ELi2EEEENSS_IJLi2ELi1ELi128ELi1EEEENSS_IJLi1ELi2ELi0ELi3EEEES1V_NSS_IJLi4ELi1ELi1ELi2EEEES1V_NSS_IJLi1ELi1ELi1ELi2EEEES1T_S1U_S1V_S1V_S1W_S1V_S1X_NSS_IJLi0ELi1ELi2ELi3ELi4ELi5EEEELi5ELi4EEEDF16_NS5_IJPKDF16_EEEDF16_S8_S8_S9_NSB_INS5_IJSE_SG_SI_SG_SG_SK_SG_SM_SM_SO_SO_SQ_SG_SG_NSP_INS5_IJiNS_17integral_constantIiLi128EEEEEELb0EEENSF_INS23_IiLi2EEEEEEEENS5_IJST_SU_SV_SW_SX_SY_SZ_S10_S11_S12_S13_S14_S15_NSS_IJLi15EEEES1C_NSS_IJLi16EEEEEEENS5_IJS17_SX_SY_SZ_S18_S19_S1A_S12_S13_S15_S14_S1B_S1C_NSS_IJLi18EEEENSS_IJLi19ELi20EEEENSS_IJLi21EEEEEEENSS_IJLi18ELi19ELi20ELi21EEEElEENSB_INS5_IJSQ_SO_SO_SQ_SG_SG_S26_S28_EEENS5_IJST_SU_SV_SX_SW_SY_S18_SZ_EEENS5_IJS1I_SW_SX_S1J_S18_NSS_IJLi8EEEENSS_IJLi9ELi10EEEES12_EEENSS_IJLi8ELi9ELi10ELi11EEEElEENS5_IJNSB_INS5_IJSK_SO_SO_NSP_INS5_IJiS27_NS23_IiLi64EEEEEELb0EEES2S_EEENS5_IJST_SU_SV_SW_SX_EEENS5_IJS1I_SW_SX_NSS_IJLi5ELi6ELi7EEEENSS_IJLi8ELi9ELi10EEEEEEENSS_IJLi5ELi6ELi7ELi8ELi9ELi10EEEElEEEEES2Z_NS_31BlockToCTileMap_M00_N00_M01_N01ILi128ELi128ES1R_Lb0EEENS1_30ComputePtrOffsetOfStridedBatchILi1ELi1ELi1EvEELb0ELb1EEEvPKT0_S37_T1_PT2_T3_T4_T5_iT6_T7_T8_T9_T10_T11_.num_vgpr, 121
	.set _ZN2ck16tensor_operation6device12_GLOBAL__N_137kernel_grouped_conv_fwd_dl_multiple_dINS_32GridwiseGemmDlMultipleD_km_kn_mnILi256EDF16_fNS_5TupleIJDF16_EEEDF16_NS0_12element_wise11PassThroughES8_NS7_7AddReluELNS_25InMemoryDataOperationEnumE0ENS_16TensorDescriptorINS5_IJNS_5EmbedINS5_IJiiiEEESD_Lb0EEENS_11PassThroughIiEENS_3PadIiiiLb0EEESG_SG_NSC_INS5_IJiiEEESJ_Lb0EEESG_NS_23Merge_v2_magic_divisionISJ_EESM_NS_8RightPadIiiLb0EEESO_NS_7UnMergeISJ_Lb0EEESG_EEENS5_IJNS_8SequenceIJLi0EEEENSS_IJLi1EEEENSS_IJLi2EEEENSS_IJLi3EEEENSS_IJLi4EEEENSS_IJLi5EEEENSS_IJLi6EEEENSS_IJLi7ELi9EEEENSS_IJLi8ELi10EEEENSS_IJLi11EEEENSS_IJLi12EEEENSS_IJLi14EEEENSS_IJLi13EEEEEEENS5_IJNSS_IJLi1ELi2ELi3EEEESX_SY_SZ_NSS_IJLi7EEEENSS_IJLi8ELi9EEEENSS_IJLi10EEEES12_S13_S15_S14_NSS_IJLi15ELi16EEEENSS_IJLi17EEEEEEENSS_IJLi15ELi17ELi16EEEElEENSB_INS5_IJSQ_SO_SO_SQ_SG_EEENS5_IJST_SU_SV_SX_SW_EEENS5_IJNSS_IJLi1ELi2EEEESW_SX_NSS_IJLi5ELi6EEEES18_EEENSS_IJLi5ELi7ELi6EEEElEENSB_INS5_IJSK_SO_SO_EEENS5_IJST_SU_SV_EEENS5_IJS1I_SW_SX_EEENSS_IJLi3ELi4EEEElEELi128ELi128ELi16ELi2ELi4ELi4ELi1ENSS_IJLi8ELi2EEEES1S_NSS_IJLi8ELi1ELi1ELi2EEEENSS_IJLi2ELi1ELi128ELi1EEEENSS_IJLi1ELi2ELi0ELi3EEEES1V_NSS_IJLi4ELi1ELi1ELi2EEEES1V_NSS_IJLi1ELi1ELi1ELi2EEEES1T_S1U_S1V_S1V_S1W_S1V_S1X_NSS_IJLi0ELi1ELi2ELi3ELi4ELi5EEEELi5ELi4EEEDF16_NS5_IJPKDF16_EEEDF16_S8_S8_S9_NSB_INS5_IJSE_SG_SI_SG_SG_SK_SG_SM_SM_SO_SO_SQ_SG_SG_NSP_INS5_IJiNS_17integral_constantIiLi128EEEEEELb0EEENSF_INS23_IiLi2EEEEEEEENS5_IJST_SU_SV_SW_SX_SY_SZ_S10_S11_S12_S13_S14_S15_NSS_IJLi15EEEES1C_NSS_IJLi16EEEEEEENS5_IJS17_SX_SY_SZ_S18_S19_S1A_S12_S13_S15_S14_S1B_S1C_NSS_IJLi18EEEENSS_IJLi19ELi20EEEENSS_IJLi21EEEEEEENSS_IJLi18ELi19ELi20ELi21EEEElEENSB_INS5_IJSQ_SO_SO_SQ_SG_SG_S26_S28_EEENS5_IJST_SU_SV_SX_SW_SY_S18_SZ_EEENS5_IJS1I_SW_SX_S1J_S18_NSS_IJLi8EEEENSS_IJLi9ELi10EEEES12_EEENSS_IJLi8ELi9ELi10ELi11EEEElEENS5_IJNSB_INS5_IJSK_SO_SO_NSP_INS5_IJiS27_NS23_IiLi64EEEEEELb0EEES2S_EEENS5_IJST_SU_SV_SW_SX_EEENS5_IJS1I_SW_SX_NSS_IJLi5ELi6ELi7EEEENSS_IJLi8ELi9ELi10EEEEEEENSS_IJLi5ELi6ELi7ELi8ELi9ELi10EEEElEEEEES2Z_NS_31BlockToCTileMap_M00_N00_M01_N01ILi128ELi128ES1R_Lb0EEENS1_30ComputePtrOffsetOfStridedBatchILi1ELi1ELi1EvEELb0ELb1EEEvPKT0_S37_T1_PT2_T3_T4_T5_iT6_T7_T8_T9_T10_T11_.num_agpr, 0
	.set _ZN2ck16tensor_operation6device12_GLOBAL__N_137kernel_grouped_conv_fwd_dl_multiple_dINS_32GridwiseGemmDlMultipleD_km_kn_mnILi256EDF16_fNS_5TupleIJDF16_EEEDF16_NS0_12element_wise11PassThroughES8_NS7_7AddReluELNS_25InMemoryDataOperationEnumE0ENS_16TensorDescriptorINS5_IJNS_5EmbedINS5_IJiiiEEESD_Lb0EEENS_11PassThroughIiEENS_3PadIiiiLb0EEESG_SG_NSC_INS5_IJiiEEESJ_Lb0EEESG_NS_23Merge_v2_magic_divisionISJ_EESM_NS_8RightPadIiiLb0EEESO_NS_7UnMergeISJ_Lb0EEESG_EEENS5_IJNS_8SequenceIJLi0EEEENSS_IJLi1EEEENSS_IJLi2EEEENSS_IJLi3EEEENSS_IJLi4EEEENSS_IJLi5EEEENSS_IJLi6EEEENSS_IJLi7ELi9EEEENSS_IJLi8ELi10EEEENSS_IJLi11EEEENSS_IJLi12EEEENSS_IJLi14EEEENSS_IJLi13EEEEEEENS5_IJNSS_IJLi1ELi2ELi3EEEESX_SY_SZ_NSS_IJLi7EEEENSS_IJLi8ELi9EEEENSS_IJLi10EEEES12_S13_S15_S14_NSS_IJLi15ELi16EEEENSS_IJLi17EEEEEEENSS_IJLi15ELi17ELi16EEEElEENSB_INS5_IJSQ_SO_SO_SQ_SG_EEENS5_IJST_SU_SV_SX_SW_EEENS5_IJNSS_IJLi1ELi2EEEESW_SX_NSS_IJLi5ELi6EEEES18_EEENSS_IJLi5ELi7ELi6EEEElEENSB_INS5_IJSK_SO_SO_EEENS5_IJST_SU_SV_EEENS5_IJS1I_SW_SX_EEENSS_IJLi3ELi4EEEElEELi128ELi128ELi16ELi2ELi4ELi4ELi1ENSS_IJLi8ELi2EEEES1S_NSS_IJLi8ELi1ELi1ELi2EEEENSS_IJLi2ELi1ELi128ELi1EEEENSS_IJLi1ELi2ELi0ELi3EEEES1V_NSS_IJLi4ELi1ELi1ELi2EEEES1V_NSS_IJLi1ELi1ELi1ELi2EEEES1T_S1U_S1V_S1V_S1W_S1V_S1X_NSS_IJLi0ELi1ELi2ELi3ELi4ELi5EEEELi5ELi4EEEDF16_NS5_IJPKDF16_EEEDF16_S8_S8_S9_NSB_INS5_IJSE_SG_SI_SG_SG_SK_SG_SM_SM_SO_SO_SQ_SG_SG_NSP_INS5_IJiNS_17integral_constantIiLi128EEEEEELb0EEENSF_INS23_IiLi2EEEEEEEENS5_IJST_SU_SV_SW_SX_SY_SZ_S10_S11_S12_S13_S14_S15_NSS_IJLi15EEEES1C_NSS_IJLi16EEEEEEENS5_IJS17_SX_SY_SZ_S18_S19_S1A_S12_S13_S15_S14_S1B_S1C_NSS_IJLi18EEEENSS_IJLi19ELi20EEEENSS_IJLi21EEEEEEENSS_IJLi18ELi19ELi20ELi21EEEElEENSB_INS5_IJSQ_SO_SO_SQ_SG_SG_S26_S28_EEENS5_IJST_SU_SV_SX_SW_SY_S18_SZ_EEENS5_IJS1I_SW_SX_S1J_S18_NSS_IJLi8EEEENSS_IJLi9ELi10EEEES12_EEENSS_IJLi8ELi9ELi10ELi11EEEElEENS5_IJNSB_INS5_IJSK_SO_SO_NSP_INS5_IJiS27_NS23_IiLi64EEEEEELb0EEES2S_EEENS5_IJST_SU_SV_SW_SX_EEENS5_IJS1I_SW_SX_NSS_IJLi5ELi6ELi7EEEENSS_IJLi8ELi9ELi10EEEEEEENSS_IJLi5ELi6ELi7ELi8ELi9ELi10EEEElEEEEES2Z_NS_31BlockToCTileMap_M00_N00_M01_N01ILi128ELi128ES1R_Lb0EEENS1_30ComputePtrOffsetOfStridedBatchILi1ELi1ELi1EvEELb0ELb1EEEvPKT0_S37_T1_PT2_T3_T4_T5_iT6_T7_T8_T9_T10_T11_.numbered_sgpr, 48
	.set _ZN2ck16tensor_operation6device12_GLOBAL__N_137kernel_grouped_conv_fwd_dl_multiple_dINS_32GridwiseGemmDlMultipleD_km_kn_mnILi256EDF16_fNS_5TupleIJDF16_EEEDF16_NS0_12element_wise11PassThroughES8_NS7_7AddReluELNS_25InMemoryDataOperationEnumE0ENS_16TensorDescriptorINS5_IJNS_5EmbedINS5_IJiiiEEESD_Lb0EEENS_11PassThroughIiEENS_3PadIiiiLb0EEESG_SG_NSC_INS5_IJiiEEESJ_Lb0EEESG_NS_23Merge_v2_magic_divisionISJ_EESM_NS_8RightPadIiiLb0EEESO_NS_7UnMergeISJ_Lb0EEESG_EEENS5_IJNS_8SequenceIJLi0EEEENSS_IJLi1EEEENSS_IJLi2EEEENSS_IJLi3EEEENSS_IJLi4EEEENSS_IJLi5EEEENSS_IJLi6EEEENSS_IJLi7ELi9EEEENSS_IJLi8ELi10EEEENSS_IJLi11EEEENSS_IJLi12EEEENSS_IJLi14EEEENSS_IJLi13EEEEEEENS5_IJNSS_IJLi1ELi2ELi3EEEESX_SY_SZ_NSS_IJLi7EEEENSS_IJLi8ELi9EEEENSS_IJLi10EEEES12_S13_S15_S14_NSS_IJLi15ELi16EEEENSS_IJLi17EEEEEEENSS_IJLi15ELi17ELi16EEEElEENSB_INS5_IJSQ_SO_SO_SQ_SG_EEENS5_IJST_SU_SV_SX_SW_EEENS5_IJNSS_IJLi1ELi2EEEESW_SX_NSS_IJLi5ELi6EEEES18_EEENSS_IJLi5ELi7ELi6EEEElEENSB_INS5_IJSK_SO_SO_EEENS5_IJST_SU_SV_EEENS5_IJS1I_SW_SX_EEENSS_IJLi3ELi4EEEElEELi128ELi128ELi16ELi2ELi4ELi4ELi1ENSS_IJLi8ELi2EEEES1S_NSS_IJLi8ELi1ELi1ELi2EEEENSS_IJLi2ELi1ELi128ELi1EEEENSS_IJLi1ELi2ELi0ELi3EEEES1V_NSS_IJLi4ELi1ELi1ELi2EEEES1V_NSS_IJLi1ELi1ELi1ELi2EEEES1T_S1U_S1V_S1V_S1W_S1V_S1X_NSS_IJLi0ELi1ELi2ELi3ELi4ELi5EEEELi5ELi4EEEDF16_NS5_IJPKDF16_EEEDF16_S8_S8_S9_NSB_INS5_IJSE_SG_SI_SG_SG_SK_SG_SM_SM_SO_SO_SQ_SG_SG_NSP_INS5_IJiNS_17integral_constantIiLi128EEEEEELb0EEENSF_INS23_IiLi2EEEEEEEENS5_IJST_SU_SV_SW_SX_SY_SZ_S10_S11_S12_S13_S14_S15_NSS_IJLi15EEEES1C_NSS_IJLi16EEEEEEENS5_IJS17_SX_SY_SZ_S18_S19_S1A_S12_S13_S15_S14_S1B_S1C_NSS_IJLi18EEEENSS_IJLi19ELi20EEEENSS_IJLi21EEEEEEENSS_IJLi18ELi19ELi20ELi21EEEElEENSB_INS5_IJSQ_SO_SO_SQ_SG_SG_S26_S28_EEENS5_IJST_SU_SV_SX_SW_SY_S18_SZ_EEENS5_IJS1I_SW_SX_S1J_S18_NSS_IJLi8EEEENSS_IJLi9ELi10EEEES12_EEENSS_IJLi8ELi9ELi10ELi11EEEElEENS5_IJNSB_INS5_IJSK_SO_SO_NSP_INS5_IJiS27_NS23_IiLi64EEEEEELb0EEES2S_EEENS5_IJST_SU_SV_SW_SX_EEENS5_IJS1I_SW_SX_NSS_IJLi5ELi6ELi7EEEENSS_IJLi8ELi9ELi10EEEEEEENSS_IJLi5ELi6ELi7ELi8ELi9ELi10EEEElEEEEES2Z_NS_31BlockToCTileMap_M00_N00_M01_N01ILi128ELi128ES1R_Lb0EEENS1_30ComputePtrOffsetOfStridedBatchILi1ELi1ELi1EvEELb0ELb1EEEvPKT0_S37_T1_PT2_T3_T4_T5_iT6_T7_T8_T9_T10_T11_.num_named_barrier, 0
	.set _ZN2ck16tensor_operation6device12_GLOBAL__N_137kernel_grouped_conv_fwd_dl_multiple_dINS_32GridwiseGemmDlMultipleD_km_kn_mnILi256EDF16_fNS_5TupleIJDF16_EEEDF16_NS0_12element_wise11PassThroughES8_NS7_7AddReluELNS_25InMemoryDataOperationEnumE0ENS_16TensorDescriptorINS5_IJNS_5EmbedINS5_IJiiiEEESD_Lb0EEENS_11PassThroughIiEENS_3PadIiiiLb0EEESG_SG_NSC_INS5_IJiiEEESJ_Lb0EEESG_NS_23Merge_v2_magic_divisionISJ_EESM_NS_8RightPadIiiLb0EEESO_NS_7UnMergeISJ_Lb0EEESG_EEENS5_IJNS_8SequenceIJLi0EEEENSS_IJLi1EEEENSS_IJLi2EEEENSS_IJLi3EEEENSS_IJLi4EEEENSS_IJLi5EEEENSS_IJLi6EEEENSS_IJLi7ELi9EEEENSS_IJLi8ELi10EEEENSS_IJLi11EEEENSS_IJLi12EEEENSS_IJLi14EEEENSS_IJLi13EEEEEEENS5_IJNSS_IJLi1ELi2ELi3EEEESX_SY_SZ_NSS_IJLi7EEEENSS_IJLi8ELi9EEEENSS_IJLi10EEEES12_S13_S15_S14_NSS_IJLi15ELi16EEEENSS_IJLi17EEEEEEENSS_IJLi15ELi17ELi16EEEElEENSB_INS5_IJSQ_SO_SO_SQ_SG_EEENS5_IJST_SU_SV_SX_SW_EEENS5_IJNSS_IJLi1ELi2EEEESW_SX_NSS_IJLi5ELi6EEEES18_EEENSS_IJLi5ELi7ELi6EEEElEENSB_INS5_IJSK_SO_SO_EEENS5_IJST_SU_SV_EEENS5_IJS1I_SW_SX_EEENSS_IJLi3ELi4EEEElEELi128ELi128ELi16ELi2ELi4ELi4ELi1ENSS_IJLi8ELi2EEEES1S_NSS_IJLi8ELi1ELi1ELi2EEEENSS_IJLi2ELi1ELi128ELi1EEEENSS_IJLi1ELi2ELi0ELi3EEEES1V_NSS_IJLi4ELi1ELi1ELi2EEEES1V_NSS_IJLi1ELi1ELi1ELi2EEEES1T_S1U_S1V_S1V_S1W_S1V_S1X_NSS_IJLi0ELi1ELi2ELi3ELi4ELi5EEEELi5ELi4EEEDF16_NS5_IJPKDF16_EEEDF16_S8_S8_S9_NSB_INS5_IJSE_SG_SI_SG_SG_SK_SG_SM_SM_SO_SO_SQ_SG_SG_NSP_INS5_IJiNS_17integral_constantIiLi128EEEEEELb0EEENSF_INS23_IiLi2EEEEEEEENS5_IJST_SU_SV_SW_SX_SY_SZ_S10_S11_S12_S13_S14_S15_NSS_IJLi15EEEES1C_NSS_IJLi16EEEEEEENS5_IJS17_SX_SY_SZ_S18_S19_S1A_S12_S13_S15_S14_S1B_S1C_NSS_IJLi18EEEENSS_IJLi19ELi20EEEENSS_IJLi21EEEEEEENSS_IJLi18ELi19ELi20ELi21EEEElEENSB_INS5_IJSQ_SO_SO_SQ_SG_SG_S26_S28_EEENS5_IJST_SU_SV_SX_SW_SY_S18_SZ_EEENS5_IJS1I_SW_SX_S1J_S18_NSS_IJLi8EEEENSS_IJLi9ELi10EEEES12_EEENSS_IJLi8ELi9ELi10ELi11EEEElEENS5_IJNSB_INS5_IJSK_SO_SO_NSP_INS5_IJiS27_NS23_IiLi64EEEEEELb0EEES2S_EEENS5_IJST_SU_SV_SW_SX_EEENS5_IJS1I_SW_SX_NSS_IJLi5ELi6ELi7EEEENSS_IJLi8ELi9ELi10EEEEEEENSS_IJLi5ELi6ELi7ELi8ELi9ELi10EEEElEEEEES2Z_NS_31BlockToCTileMap_M00_N00_M01_N01ILi128ELi128ES1R_Lb0EEENS1_30ComputePtrOffsetOfStridedBatchILi1ELi1ELi1EvEELb0ELb1EEEvPKT0_S37_T1_PT2_T3_T4_T5_iT6_T7_T8_T9_T10_T11_.private_seg_size, 0
	.set _ZN2ck16tensor_operation6device12_GLOBAL__N_137kernel_grouped_conv_fwd_dl_multiple_dINS_32GridwiseGemmDlMultipleD_km_kn_mnILi256EDF16_fNS_5TupleIJDF16_EEEDF16_NS0_12element_wise11PassThroughES8_NS7_7AddReluELNS_25InMemoryDataOperationEnumE0ENS_16TensorDescriptorINS5_IJNS_5EmbedINS5_IJiiiEEESD_Lb0EEENS_11PassThroughIiEENS_3PadIiiiLb0EEESG_SG_NSC_INS5_IJiiEEESJ_Lb0EEESG_NS_23Merge_v2_magic_divisionISJ_EESM_NS_8RightPadIiiLb0EEESO_NS_7UnMergeISJ_Lb0EEESG_EEENS5_IJNS_8SequenceIJLi0EEEENSS_IJLi1EEEENSS_IJLi2EEEENSS_IJLi3EEEENSS_IJLi4EEEENSS_IJLi5EEEENSS_IJLi6EEEENSS_IJLi7ELi9EEEENSS_IJLi8ELi10EEEENSS_IJLi11EEEENSS_IJLi12EEEENSS_IJLi14EEEENSS_IJLi13EEEEEEENS5_IJNSS_IJLi1ELi2ELi3EEEESX_SY_SZ_NSS_IJLi7EEEENSS_IJLi8ELi9EEEENSS_IJLi10EEEES12_S13_S15_S14_NSS_IJLi15ELi16EEEENSS_IJLi17EEEEEEENSS_IJLi15ELi17ELi16EEEElEENSB_INS5_IJSQ_SO_SO_SQ_SG_EEENS5_IJST_SU_SV_SX_SW_EEENS5_IJNSS_IJLi1ELi2EEEESW_SX_NSS_IJLi5ELi6EEEES18_EEENSS_IJLi5ELi7ELi6EEEElEENSB_INS5_IJSK_SO_SO_EEENS5_IJST_SU_SV_EEENS5_IJS1I_SW_SX_EEENSS_IJLi3ELi4EEEElEELi128ELi128ELi16ELi2ELi4ELi4ELi1ENSS_IJLi8ELi2EEEES1S_NSS_IJLi8ELi1ELi1ELi2EEEENSS_IJLi2ELi1ELi128ELi1EEEENSS_IJLi1ELi2ELi0ELi3EEEES1V_NSS_IJLi4ELi1ELi1ELi2EEEES1V_NSS_IJLi1ELi1ELi1ELi2EEEES1T_S1U_S1V_S1V_S1W_S1V_S1X_NSS_IJLi0ELi1ELi2ELi3ELi4ELi5EEEELi5ELi4EEEDF16_NS5_IJPKDF16_EEEDF16_S8_S8_S9_NSB_INS5_IJSE_SG_SI_SG_SG_SK_SG_SM_SM_SO_SO_SQ_SG_SG_NSP_INS5_IJiNS_17integral_constantIiLi128EEEEEELb0EEENSF_INS23_IiLi2EEEEEEEENS5_IJST_SU_SV_SW_SX_SY_SZ_S10_S11_S12_S13_S14_S15_NSS_IJLi15EEEES1C_NSS_IJLi16EEEEEEENS5_IJS17_SX_SY_SZ_S18_S19_S1A_S12_S13_S15_S14_S1B_S1C_NSS_IJLi18EEEENSS_IJLi19ELi20EEEENSS_IJLi21EEEEEEENSS_IJLi18ELi19ELi20ELi21EEEElEENSB_INS5_IJSQ_SO_SO_SQ_SG_SG_S26_S28_EEENS5_IJST_SU_SV_SX_SW_SY_S18_SZ_EEENS5_IJS1I_SW_SX_S1J_S18_NSS_IJLi8EEEENSS_IJLi9ELi10EEEES12_EEENSS_IJLi8ELi9ELi10ELi11EEEElEENS5_IJNSB_INS5_IJSK_SO_SO_NSP_INS5_IJiS27_NS23_IiLi64EEEEEELb0EEES2S_EEENS5_IJST_SU_SV_SW_SX_EEENS5_IJS1I_SW_SX_NSS_IJLi5ELi6ELi7EEEENSS_IJLi8ELi9ELi10EEEEEEENSS_IJLi5ELi6ELi7ELi8ELi9ELi10EEEElEEEEES2Z_NS_31BlockToCTileMap_M00_N00_M01_N01ILi128ELi128ES1R_Lb0EEENS1_30ComputePtrOffsetOfStridedBatchILi1ELi1ELi1EvEELb0ELb1EEEvPKT0_S37_T1_PT2_T3_T4_T5_iT6_T7_T8_T9_T10_T11_.uses_vcc, 1
	.set _ZN2ck16tensor_operation6device12_GLOBAL__N_137kernel_grouped_conv_fwd_dl_multiple_dINS_32GridwiseGemmDlMultipleD_km_kn_mnILi256EDF16_fNS_5TupleIJDF16_EEEDF16_NS0_12element_wise11PassThroughES8_NS7_7AddReluELNS_25InMemoryDataOperationEnumE0ENS_16TensorDescriptorINS5_IJNS_5EmbedINS5_IJiiiEEESD_Lb0EEENS_11PassThroughIiEENS_3PadIiiiLb0EEESG_SG_NSC_INS5_IJiiEEESJ_Lb0EEESG_NS_23Merge_v2_magic_divisionISJ_EESM_NS_8RightPadIiiLb0EEESO_NS_7UnMergeISJ_Lb0EEESG_EEENS5_IJNS_8SequenceIJLi0EEEENSS_IJLi1EEEENSS_IJLi2EEEENSS_IJLi3EEEENSS_IJLi4EEEENSS_IJLi5EEEENSS_IJLi6EEEENSS_IJLi7ELi9EEEENSS_IJLi8ELi10EEEENSS_IJLi11EEEENSS_IJLi12EEEENSS_IJLi14EEEENSS_IJLi13EEEEEEENS5_IJNSS_IJLi1ELi2ELi3EEEESX_SY_SZ_NSS_IJLi7EEEENSS_IJLi8ELi9EEEENSS_IJLi10EEEES12_S13_S15_S14_NSS_IJLi15ELi16EEEENSS_IJLi17EEEEEEENSS_IJLi15ELi17ELi16EEEElEENSB_INS5_IJSQ_SO_SO_SQ_SG_EEENS5_IJST_SU_SV_SX_SW_EEENS5_IJNSS_IJLi1ELi2EEEESW_SX_NSS_IJLi5ELi6EEEES18_EEENSS_IJLi5ELi7ELi6EEEElEENSB_INS5_IJSK_SO_SO_EEENS5_IJST_SU_SV_EEENS5_IJS1I_SW_SX_EEENSS_IJLi3ELi4EEEElEELi128ELi128ELi16ELi2ELi4ELi4ELi1ENSS_IJLi8ELi2EEEES1S_NSS_IJLi8ELi1ELi1ELi2EEEENSS_IJLi2ELi1ELi128ELi1EEEENSS_IJLi1ELi2ELi0ELi3EEEES1V_NSS_IJLi4ELi1ELi1ELi2EEEES1V_NSS_IJLi1ELi1ELi1ELi2EEEES1T_S1U_S1V_S1V_S1W_S1V_S1X_NSS_IJLi0ELi1ELi2ELi3ELi4ELi5EEEELi5ELi4EEEDF16_NS5_IJPKDF16_EEEDF16_S8_S8_S9_NSB_INS5_IJSE_SG_SI_SG_SG_SK_SG_SM_SM_SO_SO_SQ_SG_SG_NSP_INS5_IJiNS_17integral_constantIiLi128EEEEEELb0EEENSF_INS23_IiLi2EEEEEEEENS5_IJST_SU_SV_SW_SX_SY_SZ_S10_S11_S12_S13_S14_S15_NSS_IJLi15EEEES1C_NSS_IJLi16EEEEEEENS5_IJS17_SX_SY_SZ_S18_S19_S1A_S12_S13_S15_S14_S1B_S1C_NSS_IJLi18EEEENSS_IJLi19ELi20EEEENSS_IJLi21EEEEEEENSS_IJLi18ELi19ELi20ELi21EEEElEENSB_INS5_IJSQ_SO_SO_SQ_SG_SG_S26_S28_EEENS5_IJST_SU_SV_SX_SW_SY_S18_SZ_EEENS5_IJS1I_SW_SX_S1J_S18_NSS_IJLi8EEEENSS_IJLi9ELi10EEEES12_EEENSS_IJLi8ELi9ELi10ELi11EEEElEENS5_IJNSB_INS5_IJSK_SO_SO_NSP_INS5_IJiS27_NS23_IiLi64EEEEEELb0EEES2S_EEENS5_IJST_SU_SV_SW_SX_EEENS5_IJS1I_SW_SX_NSS_IJLi5ELi6ELi7EEEENSS_IJLi8ELi9ELi10EEEEEEENSS_IJLi5ELi6ELi7ELi8ELi9ELi10EEEElEEEEES2Z_NS_31BlockToCTileMap_M00_N00_M01_N01ILi128ELi128ES1R_Lb0EEENS1_30ComputePtrOffsetOfStridedBatchILi1ELi1ELi1EvEELb0ELb1EEEvPKT0_S37_T1_PT2_T3_T4_T5_iT6_T7_T8_T9_T10_T11_.uses_flat_scratch, 0
	.set _ZN2ck16tensor_operation6device12_GLOBAL__N_137kernel_grouped_conv_fwd_dl_multiple_dINS_32GridwiseGemmDlMultipleD_km_kn_mnILi256EDF16_fNS_5TupleIJDF16_EEEDF16_NS0_12element_wise11PassThroughES8_NS7_7AddReluELNS_25InMemoryDataOperationEnumE0ENS_16TensorDescriptorINS5_IJNS_5EmbedINS5_IJiiiEEESD_Lb0EEENS_11PassThroughIiEENS_3PadIiiiLb0EEESG_SG_NSC_INS5_IJiiEEESJ_Lb0EEESG_NS_23Merge_v2_magic_divisionISJ_EESM_NS_8RightPadIiiLb0EEESO_NS_7UnMergeISJ_Lb0EEESG_EEENS5_IJNS_8SequenceIJLi0EEEENSS_IJLi1EEEENSS_IJLi2EEEENSS_IJLi3EEEENSS_IJLi4EEEENSS_IJLi5EEEENSS_IJLi6EEEENSS_IJLi7ELi9EEEENSS_IJLi8ELi10EEEENSS_IJLi11EEEENSS_IJLi12EEEENSS_IJLi14EEEENSS_IJLi13EEEEEEENS5_IJNSS_IJLi1ELi2ELi3EEEESX_SY_SZ_NSS_IJLi7EEEENSS_IJLi8ELi9EEEENSS_IJLi10EEEES12_S13_S15_S14_NSS_IJLi15ELi16EEEENSS_IJLi17EEEEEEENSS_IJLi15ELi17ELi16EEEElEENSB_INS5_IJSQ_SO_SO_SQ_SG_EEENS5_IJST_SU_SV_SX_SW_EEENS5_IJNSS_IJLi1ELi2EEEESW_SX_NSS_IJLi5ELi6EEEES18_EEENSS_IJLi5ELi7ELi6EEEElEENSB_INS5_IJSK_SO_SO_EEENS5_IJST_SU_SV_EEENS5_IJS1I_SW_SX_EEENSS_IJLi3ELi4EEEElEELi128ELi128ELi16ELi2ELi4ELi4ELi1ENSS_IJLi8ELi2EEEES1S_NSS_IJLi8ELi1ELi1ELi2EEEENSS_IJLi2ELi1ELi128ELi1EEEENSS_IJLi1ELi2ELi0ELi3EEEES1V_NSS_IJLi4ELi1ELi1ELi2EEEES1V_NSS_IJLi1ELi1ELi1ELi2EEEES1T_S1U_S1V_S1V_S1W_S1V_S1X_NSS_IJLi0ELi1ELi2ELi3ELi4ELi5EEEELi5ELi4EEEDF16_NS5_IJPKDF16_EEEDF16_S8_S8_S9_NSB_INS5_IJSE_SG_SI_SG_SG_SK_SG_SM_SM_SO_SO_SQ_SG_SG_NSP_INS5_IJiNS_17integral_constantIiLi128EEEEEELb0EEENSF_INS23_IiLi2EEEEEEEENS5_IJST_SU_SV_SW_SX_SY_SZ_S10_S11_S12_S13_S14_S15_NSS_IJLi15EEEES1C_NSS_IJLi16EEEEEEENS5_IJS17_SX_SY_SZ_S18_S19_S1A_S12_S13_S15_S14_S1B_S1C_NSS_IJLi18EEEENSS_IJLi19ELi20EEEENSS_IJLi21EEEEEEENSS_IJLi18ELi19ELi20ELi21EEEElEENSB_INS5_IJSQ_SO_SO_SQ_SG_SG_S26_S28_EEENS5_IJST_SU_SV_SX_SW_SY_S18_SZ_EEENS5_IJS1I_SW_SX_S1J_S18_NSS_IJLi8EEEENSS_IJLi9ELi10EEEES12_EEENSS_IJLi8ELi9ELi10ELi11EEEElEENS5_IJNSB_INS5_IJSK_SO_SO_NSP_INS5_IJiS27_NS23_IiLi64EEEEEELb0EEES2S_EEENS5_IJST_SU_SV_SW_SX_EEENS5_IJS1I_SW_SX_NSS_IJLi5ELi6ELi7EEEENSS_IJLi8ELi9ELi10EEEEEEENSS_IJLi5ELi6ELi7ELi8ELi9ELi10EEEElEEEEES2Z_NS_31BlockToCTileMap_M00_N00_M01_N01ILi128ELi128ES1R_Lb0EEENS1_30ComputePtrOffsetOfStridedBatchILi1ELi1ELi1EvEELb0ELb1EEEvPKT0_S37_T1_PT2_T3_T4_T5_iT6_T7_T8_T9_T10_T11_.has_dyn_sized_stack, 0
	.set _ZN2ck16tensor_operation6device12_GLOBAL__N_137kernel_grouped_conv_fwd_dl_multiple_dINS_32GridwiseGemmDlMultipleD_km_kn_mnILi256EDF16_fNS_5TupleIJDF16_EEEDF16_NS0_12element_wise11PassThroughES8_NS7_7AddReluELNS_25InMemoryDataOperationEnumE0ENS_16TensorDescriptorINS5_IJNS_5EmbedINS5_IJiiiEEESD_Lb0EEENS_11PassThroughIiEENS_3PadIiiiLb0EEESG_SG_NSC_INS5_IJiiEEESJ_Lb0EEESG_NS_23Merge_v2_magic_divisionISJ_EESM_NS_8RightPadIiiLb0EEESO_NS_7UnMergeISJ_Lb0EEESG_EEENS5_IJNS_8SequenceIJLi0EEEENSS_IJLi1EEEENSS_IJLi2EEEENSS_IJLi3EEEENSS_IJLi4EEEENSS_IJLi5EEEENSS_IJLi6EEEENSS_IJLi7ELi9EEEENSS_IJLi8ELi10EEEENSS_IJLi11EEEENSS_IJLi12EEEENSS_IJLi14EEEENSS_IJLi13EEEEEEENS5_IJNSS_IJLi1ELi2ELi3EEEESX_SY_SZ_NSS_IJLi7EEEENSS_IJLi8ELi9EEEENSS_IJLi10EEEES12_S13_S15_S14_NSS_IJLi15ELi16EEEENSS_IJLi17EEEEEEENSS_IJLi15ELi17ELi16EEEElEENSB_INS5_IJSQ_SO_SO_SQ_SG_EEENS5_IJST_SU_SV_SX_SW_EEENS5_IJNSS_IJLi1ELi2EEEESW_SX_NSS_IJLi5ELi6EEEES18_EEENSS_IJLi5ELi7ELi6EEEElEENSB_INS5_IJSK_SO_SO_EEENS5_IJST_SU_SV_EEENS5_IJS1I_SW_SX_EEENSS_IJLi3ELi4EEEElEELi128ELi128ELi16ELi2ELi4ELi4ELi1ENSS_IJLi8ELi2EEEES1S_NSS_IJLi8ELi1ELi1ELi2EEEENSS_IJLi2ELi1ELi128ELi1EEEENSS_IJLi1ELi2ELi0ELi3EEEES1V_NSS_IJLi4ELi1ELi1ELi2EEEES1V_NSS_IJLi1ELi1ELi1ELi2EEEES1T_S1U_S1V_S1V_S1W_S1V_S1X_NSS_IJLi0ELi1ELi2ELi3ELi4ELi5EEEELi5ELi4EEEDF16_NS5_IJPKDF16_EEEDF16_S8_S8_S9_NSB_INS5_IJSE_SG_SI_SG_SG_SK_SG_SM_SM_SO_SO_SQ_SG_SG_NSP_INS5_IJiNS_17integral_constantIiLi128EEEEEELb0EEENSF_INS23_IiLi2EEEEEEEENS5_IJST_SU_SV_SW_SX_SY_SZ_S10_S11_S12_S13_S14_S15_NSS_IJLi15EEEES1C_NSS_IJLi16EEEEEEENS5_IJS17_SX_SY_SZ_S18_S19_S1A_S12_S13_S15_S14_S1B_S1C_NSS_IJLi18EEEENSS_IJLi19ELi20EEEENSS_IJLi21EEEEEEENSS_IJLi18ELi19ELi20ELi21EEEElEENSB_INS5_IJSQ_SO_SO_SQ_SG_SG_S26_S28_EEENS5_IJST_SU_SV_SX_SW_SY_S18_SZ_EEENS5_IJS1I_SW_SX_S1J_S18_NSS_IJLi8EEEENSS_IJLi9ELi10EEEES12_EEENSS_IJLi8ELi9ELi10ELi11EEEElEENS5_IJNSB_INS5_IJSK_SO_SO_NSP_INS5_IJiS27_NS23_IiLi64EEEEEELb0EEES2S_EEENS5_IJST_SU_SV_SW_SX_EEENS5_IJS1I_SW_SX_NSS_IJLi5ELi6ELi7EEEENSS_IJLi8ELi9ELi10EEEEEEENSS_IJLi5ELi6ELi7ELi8ELi9ELi10EEEElEEEEES2Z_NS_31BlockToCTileMap_M00_N00_M01_N01ILi128ELi128ES1R_Lb0EEENS1_30ComputePtrOffsetOfStridedBatchILi1ELi1ELi1EvEELb0ELb1EEEvPKT0_S37_T1_PT2_T3_T4_T5_iT6_T7_T8_T9_T10_T11_.has_recursion, 0
	.set _ZN2ck16tensor_operation6device12_GLOBAL__N_137kernel_grouped_conv_fwd_dl_multiple_dINS_32GridwiseGemmDlMultipleD_km_kn_mnILi256EDF16_fNS_5TupleIJDF16_EEEDF16_NS0_12element_wise11PassThroughES8_NS7_7AddReluELNS_25InMemoryDataOperationEnumE0ENS_16TensorDescriptorINS5_IJNS_5EmbedINS5_IJiiiEEESD_Lb0EEENS_11PassThroughIiEENS_3PadIiiiLb0EEESG_SG_NSC_INS5_IJiiEEESJ_Lb0EEESG_NS_23Merge_v2_magic_divisionISJ_EESM_NS_8RightPadIiiLb0EEESO_NS_7UnMergeISJ_Lb0EEESG_EEENS5_IJNS_8SequenceIJLi0EEEENSS_IJLi1EEEENSS_IJLi2EEEENSS_IJLi3EEEENSS_IJLi4EEEENSS_IJLi5EEEENSS_IJLi6EEEENSS_IJLi7ELi9EEEENSS_IJLi8ELi10EEEENSS_IJLi11EEEENSS_IJLi12EEEENSS_IJLi14EEEENSS_IJLi13EEEEEEENS5_IJNSS_IJLi1ELi2ELi3EEEESX_SY_SZ_NSS_IJLi7EEEENSS_IJLi8ELi9EEEENSS_IJLi10EEEES12_S13_S15_S14_NSS_IJLi15ELi16EEEENSS_IJLi17EEEEEEENSS_IJLi15ELi17ELi16EEEElEENSB_INS5_IJSQ_SO_SO_SQ_SG_EEENS5_IJST_SU_SV_SX_SW_EEENS5_IJNSS_IJLi1ELi2EEEESW_SX_NSS_IJLi5ELi6EEEES18_EEENSS_IJLi5ELi7ELi6EEEElEENSB_INS5_IJSK_SO_SO_EEENS5_IJST_SU_SV_EEENS5_IJS1I_SW_SX_EEENSS_IJLi3ELi4EEEElEELi128ELi128ELi16ELi2ELi4ELi4ELi1ENSS_IJLi8ELi2EEEES1S_NSS_IJLi8ELi1ELi1ELi2EEEENSS_IJLi2ELi1ELi128ELi1EEEENSS_IJLi1ELi2ELi0ELi3EEEES1V_NSS_IJLi4ELi1ELi1ELi2EEEES1V_NSS_IJLi1ELi1ELi1ELi2EEEES1T_S1U_S1V_S1V_S1W_S1V_S1X_NSS_IJLi0ELi1ELi2ELi3ELi4ELi5EEEELi5ELi4EEEDF16_NS5_IJPKDF16_EEEDF16_S8_S8_S9_NSB_INS5_IJSE_SG_SI_SG_SG_SK_SG_SM_SM_SO_SO_SQ_SG_SG_NSP_INS5_IJiNS_17integral_constantIiLi128EEEEEELb0EEENSF_INS23_IiLi2EEEEEEEENS5_IJST_SU_SV_SW_SX_SY_SZ_S10_S11_S12_S13_S14_S15_NSS_IJLi15EEEES1C_NSS_IJLi16EEEEEEENS5_IJS17_SX_SY_SZ_S18_S19_S1A_S12_S13_S15_S14_S1B_S1C_NSS_IJLi18EEEENSS_IJLi19ELi20EEEENSS_IJLi21EEEEEEENSS_IJLi18ELi19ELi20ELi21EEEElEENSB_INS5_IJSQ_SO_SO_SQ_SG_SG_S26_S28_EEENS5_IJST_SU_SV_SX_SW_SY_S18_SZ_EEENS5_IJS1I_SW_SX_S1J_S18_NSS_IJLi8EEEENSS_IJLi9ELi10EEEES12_EEENSS_IJLi8ELi9ELi10ELi11EEEElEENS5_IJNSB_INS5_IJSK_SO_SO_NSP_INS5_IJiS27_NS23_IiLi64EEEEEELb0EEES2S_EEENS5_IJST_SU_SV_SW_SX_EEENS5_IJS1I_SW_SX_NSS_IJLi5ELi6ELi7EEEENSS_IJLi8ELi9ELi10EEEEEEENSS_IJLi5ELi6ELi7ELi8ELi9ELi10EEEElEEEEES2Z_NS_31BlockToCTileMap_M00_N00_M01_N01ILi128ELi128ES1R_Lb0EEENS1_30ComputePtrOffsetOfStridedBatchILi1ELi1ELi1EvEELb0ELb1EEEvPKT0_S37_T1_PT2_T3_T4_T5_iT6_T7_T8_T9_T10_T11_.has_indirect_call, 0
	.section	.AMDGPU.csdata,"",@progbits
; Kernel info:
; codeLenInByte = 14780
; TotalNumSgprs: 50
; NumVgprs: 121
; ScratchSize: 0
; MemoryBound: 0
; FloatMode: 240
; IeeeMode: 1
; LDSByteSize: 32768 bytes/workgroup (compile time only)
; SGPRBlocks: 0
; VGPRBlocks: 15
; NumSGPRsForWavesPerEU: 50
; NumVGPRsForWavesPerEU: 121
; Occupancy: 8
; WaveLimiterHint : 0
; COMPUTE_PGM_RSRC2:SCRATCH_EN: 0
; COMPUTE_PGM_RSRC2:USER_SGPR: 6
; COMPUTE_PGM_RSRC2:TRAP_HANDLER: 0
; COMPUTE_PGM_RSRC2:TGID_X_EN: 1
; COMPUTE_PGM_RSRC2:TGID_Y_EN: 0
; COMPUTE_PGM_RSRC2:TGID_Z_EN: 0
; COMPUTE_PGM_RSRC2:TIDIG_COMP_CNT: 0
	.section	.text._ZN2ck16tensor_operation6device12_GLOBAL__N_137kernel_grouped_conv_fwd_dl_multiple_dINS_32GridwiseGemmDlMultipleD_km_kn_mnILi256EDF16_fNS_5TupleIJDF16_EEEDF16_NS0_12element_wise11PassThroughES8_NS7_7AddReluELNS_25InMemoryDataOperationEnumE0ENS_16TensorDescriptorINS5_IJNS_5EmbedINS5_IJiiiEEESD_Lb0EEENS_11PassThroughIiEENS_3PadIiiiLb0EEESG_SG_NSC_INS5_IJiiEEESJ_Lb0EEESG_NS_23Merge_v2_magic_divisionISJ_EESM_NS_8RightPadIiiLb0EEESO_NS_7UnMergeISJ_Lb0EEESG_EEENS5_IJNS_8SequenceIJLi0EEEENSS_IJLi1EEEENSS_IJLi2EEEENSS_IJLi3EEEENSS_IJLi4EEEENSS_IJLi5EEEENSS_IJLi6EEEENSS_IJLi7ELi9EEEENSS_IJLi8ELi10EEEENSS_IJLi11EEEENSS_IJLi12EEEENSS_IJLi14EEEENSS_IJLi13EEEEEEENS5_IJNSS_IJLi1ELi2ELi3EEEESX_SY_SZ_NSS_IJLi7EEEENSS_IJLi8ELi9EEEENSS_IJLi10EEEES12_S13_S15_S14_NSS_IJLi15ELi16EEEENSS_IJLi17EEEEEEENSS_IJLi15ELi17ELi16EEEElEENSB_INS5_IJSQ_SO_SO_SQ_SG_EEENS5_IJST_SU_SV_SX_SW_EEENS5_IJNSS_IJLi1ELi2EEEESW_SX_NSS_IJLi5ELi6EEEES18_EEENSS_IJLi5ELi7ELi6EEEElEENSB_INS5_IJSK_SO_SO_EEENS5_IJST_SU_SV_EEENS5_IJS1I_SW_SX_EEENSS_IJLi3ELi4EEEElEELi128ELi128ELi16ELi2ELi4ELi4ELi1ENSS_IJLi8ELi2EEEES1S_NSS_IJLi8ELi1ELi1ELi2EEEENSS_IJLi2ELi1ELi128ELi1EEEENSS_IJLi1ELi2ELi0ELi3EEEES1V_NSS_IJLi4ELi1ELi1ELi2EEEES1V_NSS_IJLi1ELi1ELi1ELi2EEEES1T_S1U_S1V_S1V_S1W_S1V_S1X_NSS_IJLi0ELi1ELi2ELi3ELi4ELi5EEEELi5ELi4EEEDF16_NS5_IJPKDF16_EEEDF16_S8_S8_S9_NSB_INS5_IJSE_SG_SI_SG_SG_SK_SG_SM_SM_SO_SO_SQ_SG_SG_NSP_INS5_IJiNS_17integral_constantIiLi128EEEEEELb0EEENSF_INS23_IiLi2EEEEEEEENS5_IJST_SU_SV_SW_SX_SY_SZ_S10_S11_S12_S13_S14_S15_NSS_IJLi15EEEES1C_NSS_IJLi16EEEEEEENS5_IJS17_SX_SY_SZ_S18_S19_S1A_S12_S13_S15_S14_S1B_S1C_NSS_IJLi18EEEENSS_IJLi19ELi20EEEENSS_IJLi21EEEEEEENSS_IJLi18ELi19ELi20ELi21EEEElEENSB_INS5_IJSQ_SO_SO_SQ_SG_SG_S26_S28_EEENS5_IJST_SU_SV_SX_SW_SY_S18_SZ_EEENS5_IJS1I_SW_SX_S1J_S18_NSS_IJLi8EEEENSS_IJLi9ELi10EEEES12_EEENSS_IJLi8ELi9ELi10ELi11EEEElEENS5_IJNSB_INS5_IJSK_SO_SO_NSP_INS5_IJiS27_NS23_IiLi64EEEEEELb0EEES2S_EEENS5_IJST_SU_SV_SW_SX_EEENS5_IJS1I_SW_SX_NSS_IJLi5ELi6ELi7EEEENSS_IJLi8ELi9ELi10EEEEEEENSS_IJLi5ELi6ELi7ELi8ELi9ELi10EEEElEEEEES2Z_NS_31BlockToCTileMap_M00_N00_M01_N01ILi128ELi128ES1R_Lb0EEENS1_30ComputePtrOffsetOfStridedBatchILi1ELi1ELi1EvEELb0ELb0EEEvPKT0_S37_T1_PT2_T3_T4_T5_iT6_T7_T8_T9_T10_T11_,"axG",@progbits,_ZN2ck16tensor_operation6device12_GLOBAL__N_137kernel_grouped_conv_fwd_dl_multiple_dINS_32GridwiseGemmDlMultipleD_km_kn_mnILi256EDF16_fNS_5TupleIJDF16_EEEDF16_NS0_12element_wise11PassThroughES8_NS7_7AddReluELNS_25InMemoryDataOperationEnumE0ENS_16TensorDescriptorINS5_IJNS_5EmbedINS5_IJiiiEEESD_Lb0EEENS_11PassThroughIiEENS_3PadIiiiLb0EEESG_SG_NSC_INS5_IJiiEEESJ_Lb0EEESG_NS_23Merge_v2_magic_divisionISJ_EESM_NS_8RightPadIiiLb0EEESO_NS_7UnMergeISJ_Lb0EEESG_EEENS5_IJNS_8SequenceIJLi0EEEENSS_IJLi1EEEENSS_IJLi2EEEENSS_IJLi3EEEENSS_IJLi4EEEENSS_IJLi5EEEENSS_IJLi6EEEENSS_IJLi7ELi9EEEENSS_IJLi8ELi10EEEENSS_IJLi11EEEENSS_IJLi12EEEENSS_IJLi14EEEENSS_IJLi13EEEEEEENS5_IJNSS_IJLi1ELi2ELi3EEEESX_SY_SZ_NSS_IJLi7EEEENSS_IJLi8ELi9EEEENSS_IJLi10EEEES12_S13_S15_S14_NSS_IJLi15ELi16EEEENSS_IJLi17EEEEEEENSS_IJLi15ELi17ELi16EEEElEENSB_INS5_IJSQ_SO_SO_SQ_SG_EEENS5_IJST_SU_SV_SX_SW_EEENS5_IJNSS_IJLi1ELi2EEEESW_SX_NSS_IJLi5ELi6EEEES18_EEENSS_IJLi5ELi7ELi6EEEElEENSB_INS5_IJSK_SO_SO_EEENS5_IJST_SU_SV_EEENS5_IJS1I_SW_SX_EEENSS_IJLi3ELi4EEEElEELi128ELi128ELi16ELi2ELi4ELi4ELi1ENSS_IJLi8ELi2EEEES1S_NSS_IJLi8ELi1ELi1ELi2EEEENSS_IJLi2ELi1ELi128ELi1EEEENSS_IJLi1ELi2ELi0ELi3EEEES1V_NSS_IJLi4ELi1ELi1ELi2EEEES1V_NSS_IJLi1ELi1ELi1ELi2EEEES1T_S1U_S1V_S1V_S1W_S1V_S1X_NSS_IJLi0ELi1ELi2ELi3ELi4ELi5EEEELi5ELi4EEEDF16_NS5_IJPKDF16_EEEDF16_S8_S8_S9_NSB_INS5_IJSE_SG_SI_SG_SG_SK_SG_SM_SM_SO_SO_SQ_SG_SG_NSP_INS5_IJiNS_17integral_constantIiLi128EEEEEELb0EEENSF_INS23_IiLi2EEEEEEEENS5_IJST_SU_SV_SW_SX_SY_SZ_S10_S11_S12_S13_S14_S15_NSS_IJLi15EEEES1C_NSS_IJLi16EEEEEEENS5_IJS17_SX_SY_SZ_S18_S19_S1A_S12_S13_S15_S14_S1B_S1C_NSS_IJLi18EEEENSS_IJLi19ELi20EEEENSS_IJLi21EEEEEEENSS_IJLi18ELi19ELi20ELi21EEEElEENSB_INS5_IJSQ_SO_SO_SQ_SG_SG_S26_S28_EEENS5_IJST_SU_SV_SX_SW_SY_S18_SZ_EEENS5_IJS1I_SW_SX_S1J_S18_NSS_IJLi8EEEENSS_IJLi9ELi10EEEES12_EEENSS_IJLi8ELi9ELi10ELi11EEEElEENS5_IJNSB_INS5_IJSK_SO_SO_NSP_INS5_IJiS27_NS23_IiLi64EEEEEELb0EEES2S_EEENS5_IJST_SU_SV_SW_SX_EEENS5_IJS1I_SW_SX_NSS_IJLi5ELi6ELi7EEEENSS_IJLi8ELi9ELi10EEEEEEENSS_IJLi5ELi6ELi7ELi8ELi9ELi10EEEElEEEEES2Z_NS_31BlockToCTileMap_M00_N00_M01_N01ILi128ELi128ES1R_Lb0EEENS1_30ComputePtrOffsetOfStridedBatchILi1ELi1ELi1EvEELb0ELb0EEEvPKT0_S37_T1_PT2_T3_T4_T5_iT6_T7_T8_T9_T10_T11_,comdat
	.globl	_ZN2ck16tensor_operation6device12_GLOBAL__N_137kernel_grouped_conv_fwd_dl_multiple_dINS_32GridwiseGemmDlMultipleD_km_kn_mnILi256EDF16_fNS_5TupleIJDF16_EEEDF16_NS0_12element_wise11PassThroughES8_NS7_7AddReluELNS_25InMemoryDataOperationEnumE0ENS_16TensorDescriptorINS5_IJNS_5EmbedINS5_IJiiiEEESD_Lb0EEENS_11PassThroughIiEENS_3PadIiiiLb0EEESG_SG_NSC_INS5_IJiiEEESJ_Lb0EEESG_NS_23Merge_v2_magic_divisionISJ_EESM_NS_8RightPadIiiLb0EEESO_NS_7UnMergeISJ_Lb0EEESG_EEENS5_IJNS_8SequenceIJLi0EEEENSS_IJLi1EEEENSS_IJLi2EEEENSS_IJLi3EEEENSS_IJLi4EEEENSS_IJLi5EEEENSS_IJLi6EEEENSS_IJLi7ELi9EEEENSS_IJLi8ELi10EEEENSS_IJLi11EEEENSS_IJLi12EEEENSS_IJLi14EEEENSS_IJLi13EEEEEEENS5_IJNSS_IJLi1ELi2ELi3EEEESX_SY_SZ_NSS_IJLi7EEEENSS_IJLi8ELi9EEEENSS_IJLi10EEEES12_S13_S15_S14_NSS_IJLi15ELi16EEEENSS_IJLi17EEEEEEENSS_IJLi15ELi17ELi16EEEElEENSB_INS5_IJSQ_SO_SO_SQ_SG_EEENS5_IJST_SU_SV_SX_SW_EEENS5_IJNSS_IJLi1ELi2EEEESW_SX_NSS_IJLi5ELi6EEEES18_EEENSS_IJLi5ELi7ELi6EEEElEENSB_INS5_IJSK_SO_SO_EEENS5_IJST_SU_SV_EEENS5_IJS1I_SW_SX_EEENSS_IJLi3ELi4EEEElEELi128ELi128ELi16ELi2ELi4ELi4ELi1ENSS_IJLi8ELi2EEEES1S_NSS_IJLi8ELi1ELi1ELi2EEEENSS_IJLi2ELi1ELi128ELi1EEEENSS_IJLi1ELi2ELi0ELi3EEEES1V_NSS_IJLi4ELi1ELi1ELi2EEEES1V_NSS_IJLi1ELi1ELi1ELi2EEEES1T_S1U_S1V_S1V_S1W_S1V_S1X_NSS_IJLi0ELi1ELi2ELi3ELi4ELi5EEEELi5ELi4EEEDF16_NS5_IJPKDF16_EEEDF16_S8_S8_S9_NSB_INS5_IJSE_SG_SI_SG_SG_SK_SG_SM_SM_SO_SO_SQ_SG_SG_NSP_INS5_IJiNS_17integral_constantIiLi128EEEEEELb0EEENSF_INS23_IiLi2EEEEEEEENS5_IJST_SU_SV_SW_SX_SY_SZ_S10_S11_S12_S13_S14_S15_NSS_IJLi15EEEES1C_NSS_IJLi16EEEEEEENS5_IJS17_SX_SY_SZ_S18_S19_S1A_S12_S13_S15_S14_S1B_S1C_NSS_IJLi18EEEENSS_IJLi19ELi20EEEENSS_IJLi21EEEEEEENSS_IJLi18ELi19ELi20ELi21EEEElEENSB_INS5_IJSQ_SO_SO_SQ_SG_SG_S26_S28_EEENS5_IJST_SU_SV_SX_SW_SY_S18_SZ_EEENS5_IJS1I_SW_SX_S1J_S18_NSS_IJLi8EEEENSS_IJLi9ELi10EEEES12_EEENSS_IJLi8ELi9ELi10ELi11EEEElEENS5_IJNSB_INS5_IJSK_SO_SO_NSP_INS5_IJiS27_NS23_IiLi64EEEEEELb0EEES2S_EEENS5_IJST_SU_SV_SW_SX_EEENS5_IJS1I_SW_SX_NSS_IJLi5ELi6ELi7EEEENSS_IJLi8ELi9ELi10EEEEEEENSS_IJLi5ELi6ELi7ELi8ELi9ELi10EEEElEEEEES2Z_NS_31BlockToCTileMap_M00_N00_M01_N01ILi128ELi128ES1R_Lb0EEENS1_30ComputePtrOffsetOfStridedBatchILi1ELi1ELi1EvEELb0ELb0EEEvPKT0_S37_T1_PT2_T3_T4_T5_iT6_T7_T8_T9_T10_T11_ ; -- Begin function _ZN2ck16tensor_operation6device12_GLOBAL__N_137kernel_grouped_conv_fwd_dl_multiple_dINS_32GridwiseGemmDlMultipleD_km_kn_mnILi256EDF16_fNS_5TupleIJDF16_EEEDF16_NS0_12element_wise11PassThroughES8_NS7_7AddReluELNS_25InMemoryDataOperationEnumE0ENS_16TensorDescriptorINS5_IJNS_5EmbedINS5_IJiiiEEESD_Lb0EEENS_11PassThroughIiEENS_3PadIiiiLb0EEESG_SG_NSC_INS5_IJiiEEESJ_Lb0EEESG_NS_23Merge_v2_magic_divisionISJ_EESM_NS_8RightPadIiiLb0EEESO_NS_7UnMergeISJ_Lb0EEESG_EEENS5_IJNS_8SequenceIJLi0EEEENSS_IJLi1EEEENSS_IJLi2EEEENSS_IJLi3EEEENSS_IJLi4EEEENSS_IJLi5EEEENSS_IJLi6EEEENSS_IJLi7ELi9EEEENSS_IJLi8ELi10EEEENSS_IJLi11EEEENSS_IJLi12EEEENSS_IJLi14EEEENSS_IJLi13EEEEEEENS5_IJNSS_IJLi1ELi2ELi3EEEESX_SY_SZ_NSS_IJLi7EEEENSS_IJLi8ELi9EEEENSS_IJLi10EEEES12_S13_S15_S14_NSS_IJLi15ELi16EEEENSS_IJLi17EEEEEEENSS_IJLi15ELi17ELi16EEEElEENSB_INS5_IJSQ_SO_SO_SQ_SG_EEENS5_IJST_SU_SV_SX_SW_EEENS5_IJNSS_IJLi1ELi2EEEESW_SX_NSS_IJLi5ELi6EEEES18_EEENSS_IJLi5ELi7ELi6EEEElEENSB_INS5_IJSK_SO_SO_EEENS5_IJST_SU_SV_EEENS5_IJS1I_SW_SX_EEENSS_IJLi3ELi4EEEElEELi128ELi128ELi16ELi2ELi4ELi4ELi1ENSS_IJLi8ELi2EEEES1S_NSS_IJLi8ELi1ELi1ELi2EEEENSS_IJLi2ELi1ELi128ELi1EEEENSS_IJLi1ELi2ELi0ELi3EEEES1V_NSS_IJLi4ELi1ELi1ELi2EEEES1V_NSS_IJLi1ELi1ELi1ELi2EEEES1T_S1U_S1V_S1V_S1W_S1V_S1X_NSS_IJLi0ELi1ELi2ELi3ELi4ELi5EEEELi5ELi4EEEDF16_NS5_IJPKDF16_EEEDF16_S8_S8_S9_NSB_INS5_IJSE_SG_SI_SG_SG_SK_SG_SM_SM_SO_SO_SQ_SG_SG_NSP_INS5_IJiNS_17integral_constantIiLi128EEEEEELb0EEENSF_INS23_IiLi2EEEEEEEENS5_IJST_SU_SV_SW_SX_SY_SZ_S10_S11_S12_S13_S14_S15_NSS_IJLi15EEEES1C_NSS_IJLi16EEEEEEENS5_IJS17_SX_SY_SZ_S18_S19_S1A_S12_S13_S15_S14_S1B_S1C_NSS_IJLi18EEEENSS_IJLi19ELi20EEEENSS_IJLi21EEEEEEENSS_IJLi18ELi19ELi20ELi21EEEElEENSB_INS5_IJSQ_SO_SO_SQ_SG_SG_S26_S28_EEENS5_IJST_SU_SV_SX_SW_SY_S18_SZ_EEENS5_IJS1I_SW_SX_S1J_S18_NSS_IJLi8EEEENSS_IJLi9ELi10EEEES12_EEENSS_IJLi8ELi9ELi10ELi11EEEElEENS5_IJNSB_INS5_IJSK_SO_SO_NSP_INS5_IJiS27_NS23_IiLi64EEEEEELb0EEES2S_EEENS5_IJST_SU_SV_SW_SX_EEENS5_IJS1I_SW_SX_NSS_IJLi5ELi6ELi7EEEENSS_IJLi8ELi9ELi10EEEEEEENSS_IJLi5ELi6ELi7ELi8ELi9ELi10EEEElEEEEES2Z_NS_31BlockToCTileMap_M00_N00_M01_N01ILi128ELi128ES1R_Lb0EEENS1_30ComputePtrOffsetOfStridedBatchILi1ELi1ELi1EvEELb0ELb0EEEvPKT0_S37_T1_PT2_T3_T4_T5_iT6_T7_T8_T9_T10_T11_
	.p2align	8
	.type	_ZN2ck16tensor_operation6device12_GLOBAL__N_137kernel_grouped_conv_fwd_dl_multiple_dINS_32GridwiseGemmDlMultipleD_km_kn_mnILi256EDF16_fNS_5TupleIJDF16_EEEDF16_NS0_12element_wise11PassThroughES8_NS7_7AddReluELNS_25InMemoryDataOperationEnumE0ENS_16TensorDescriptorINS5_IJNS_5EmbedINS5_IJiiiEEESD_Lb0EEENS_11PassThroughIiEENS_3PadIiiiLb0EEESG_SG_NSC_INS5_IJiiEEESJ_Lb0EEESG_NS_23Merge_v2_magic_divisionISJ_EESM_NS_8RightPadIiiLb0EEESO_NS_7UnMergeISJ_Lb0EEESG_EEENS5_IJNS_8SequenceIJLi0EEEENSS_IJLi1EEEENSS_IJLi2EEEENSS_IJLi3EEEENSS_IJLi4EEEENSS_IJLi5EEEENSS_IJLi6EEEENSS_IJLi7ELi9EEEENSS_IJLi8ELi10EEEENSS_IJLi11EEEENSS_IJLi12EEEENSS_IJLi14EEEENSS_IJLi13EEEEEEENS5_IJNSS_IJLi1ELi2ELi3EEEESX_SY_SZ_NSS_IJLi7EEEENSS_IJLi8ELi9EEEENSS_IJLi10EEEES12_S13_S15_S14_NSS_IJLi15ELi16EEEENSS_IJLi17EEEEEEENSS_IJLi15ELi17ELi16EEEElEENSB_INS5_IJSQ_SO_SO_SQ_SG_EEENS5_IJST_SU_SV_SX_SW_EEENS5_IJNSS_IJLi1ELi2EEEESW_SX_NSS_IJLi5ELi6EEEES18_EEENSS_IJLi5ELi7ELi6EEEElEENSB_INS5_IJSK_SO_SO_EEENS5_IJST_SU_SV_EEENS5_IJS1I_SW_SX_EEENSS_IJLi3ELi4EEEElEELi128ELi128ELi16ELi2ELi4ELi4ELi1ENSS_IJLi8ELi2EEEES1S_NSS_IJLi8ELi1ELi1ELi2EEEENSS_IJLi2ELi1ELi128ELi1EEEENSS_IJLi1ELi2ELi0ELi3EEEES1V_NSS_IJLi4ELi1ELi1ELi2EEEES1V_NSS_IJLi1ELi1ELi1ELi2EEEES1T_S1U_S1V_S1V_S1W_S1V_S1X_NSS_IJLi0ELi1ELi2ELi3ELi4ELi5EEEELi5ELi4EEEDF16_NS5_IJPKDF16_EEEDF16_S8_S8_S9_NSB_INS5_IJSE_SG_SI_SG_SG_SK_SG_SM_SM_SO_SO_SQ_SG_SG_NSP_INS5_IJiNS_17integral_constantIiLi128EEEEEELb0EEENSF_INS23_IiLi2EEEEEEEENS5_IJST_SU_SV_SW_SX_SY_SZ_S10_S11_S12_S13_S14_S15_NSS_IJLi15EEEES1C_NSS_IJLi16EEEEEEENS5_IJS17_SX_SY_SZ_S18_S19_S1A_S12_S13_S15_S14_S1B_S1C_NSS_IJLi18EEEENSS_IJLi19ELi20EEEENSS_IJLi21EEEEEEENSS_IJLi18ELi19ELi20ELi21EEEElEENSB_INS5_IJSQ_SO_SO_SQ_SG_SG_S26_S28_EEENS5_IJST_SU_SV_SX_SW_SY_S18_SZ_EEENS5_IJS1I_SW_SX_S1J_S18_NSS_IJLi8EEEENSS_IJLi9ELi10EEEES12_EEENSS_IJLi8ELi9ELi10ELi11EEEElEENS5_IJNSB_INS5_IJSK_SO_SO_NSP_INS5_IJiS27_NS23_IiLi64EEEEEELb0EEES2S_EEENS5_IJST_SU_SV_SW_SX_EEENS5_IJS1I_SW_SX_NSS_IJLi5ELi6ELi7EEEENSS_IJLi8ELi9ELi10EEEEEEENSS_IJLi5ELi6ELi7ELi8ELi9ELi10EEEElEEEEES2Z_NS_31BlockToCTileMap_M00_N00_M01_N01ILi128ELi128ES1R_Lb0EEENS1_30ComputePtrOffsetOfStridedBatchILi1ELi1ELi1EvEELb0ELb0EEEvPKT0_S37_T1_PT2_T3_T4_T5_iT6_T7_T8_T9_T10_T11_,@function
_ZN2ck16tensor_operation6device12_GLOBAL__N_137kernel_grouped_conv_fwd_dl_multiple_dINS_32GridwiseGemmDlMultipleD_km_kn_mnILi256EDF16_fNS_5TupleIJDF16_EEEDF16_NS0_12element_wise11PassThroughES8_NS7_7AddReluELNS_25InMemoryDataOperationEnumE0ENS_16TensorDescriptorINS5_IJNS_5EmbedINS5_IJiiiEEESD_Lb0EEENS_11PassThroughIiEENS_3PadIiiiLb0EEESG_SG_NSC_INS5_IJiiEEESJ_Lb0EEESG_NS_23Merge_v2_magic_divisionISJ_EESM_NS_8RightPadIiiLb0EEESO_NS_7UnMergeISJ_Lb0EEESG_EEENS5_IJNS_8SequenceIJLi0EEEENSS_IJLi1EEEENSS_IJLi2EEEENSS_IJLi3EEEENSS_IJLi4EEEENSS_IJLi5EEEENSS_IJLi6EEEENSS_IJLi7ELi9EEEENSS_IJLi8ELi10EEEENSS_IJLi11EEEENSS_IJLi12EEEENSS_IJLi14EEEENSS_IJLi13EEEEEEENS5_IJNSS_IJLi1ELi2ELi3EEEESX_SY_SZ_NSS_IJLi7EEEENSS_IJLi8ELi9EEEENSS_IJLi10EEEES12_S13_S15_S14_NSS_IJLi15ELi16EEEENSS_IJLi17EEEEEEENSS_IJLi15ELi17ELi16EEEElEENSB_INS5_IJSQ_SO_SO_SQ_SG_EEENS5_IJST_SU_SV_SX_SW_EEENS5_IJNSS_IJLi1ELi2EEEESW_SX_NSS_IJLi5ELi6EEEES18_EEENSS_IJLi5ELi7ELi6EEEElEENSB_INS5_IJSK_SO_SO_EEENS5_IJST_SU_SV_EEENS5_IJS1I_SW_SX_EEENSS_IJLi3ELi4EEEElEELi128ELi128ELi16ELi2ELi4ELi4ELi1ENSS_IJLi8ELi2EEEES1S_NSS_IJLi8ELi1ELi1ELi2EEEENSS_IJLi2ELi1ELi128ELi1EEEENSS_IJLi1ELi2ELi0ELi3EEEES1V_NSS_IJLi4ELi1ELi1ELi2EEEES1V_NSS_IJLi1ELi1ELi1ELi2EEEES1T_S1U_S1V_S1V_S1W_S1V_S1X_NSS_IJLi0ELi1ELi2ELi3ELi4ELi5EEEELi5ELi4EEEDF16_NS5_IJPKDF16_EEEDF16_S8_S8_S9_NSB_INS5_IJSE_SG_SI_SG_SG_SK_SG_SM_SM_SO_SO_SQ_SG_SG_NSP_INS5_IJiNS_17integral_constantIiLi128EEEEEELb0EEENSF_INS23_IiLi2EEEEEEEENS5_IJST_SU_SV_SW_SX_SY_SZ_S10_S11_S12_S13_S14_S15_NSS_IJLi15EEEES1C_NSS_IJLi16EEEEEEENS5_IJS17_SX_SY_SZ_S18_S19_S1A_S12_S13_S15_S14_S1B_S1C_NSS_IJLi18EEEENSS_IJLi19ELi20EEEENSS_IJLi21EEEEEEENSS_IJLi18ELi19ELi20ELi21EEEElEENSB_INS5_IJSQ_SO_SO_SQ_SG_SG_S26_S28_EEENS5_IJST_SU_SV_SX_SW_SY_S18_SZ_EEENS5_IJS1I_SW_SX_S1J_S18_NSS_IJLi8EEEENSS_IJLi9ELi10EEEES12_EEENSS_IJLi8ELi9ELi10ELi11EEEElEENS5_IJNSB_INS5_IJSK_SO_SO_NSP_INS5_IJiS27_NS23_IiLi64EEEEEELb0EEES2S_EEENS5_IJST_SU_SV_SW_SX_EEENS5_IJS1I_SW_SX_NSS_IJLi5ELi6ELi7EEEENSS_IJLi8ELi9ELi10EEEEEEENSS_IJLi5ELi6ELi7ELi8ELi9ELi10EEEElEEEEES2Z_NS_31BlockToCTileMap_M00_N00_M01_N01ILi128ELi128ES1R_Lb0EEENS1_30ComputePtrOffsetOfStridedBatchILi1ELi1ELi1EvEELb0ELb0EEEvPKT0_S37_T1_PT2_T3_T4_T5_iT6_T7_T8_T9_T10_T11_: ; @_ZN2ck16tensor_operation6device12_GLOBAL__N_137kernel_grouped_conv_fwd_dl_multiple_dINS_32GridwiseGemmDlMultipleD_km_kn_mnILi256EDF16_fNS_5TupleIJDF16_EEEDF16_NS0_12element_wise11PassThroughES8_NS7_7AddReluELNS_25InMemoryDataOperationEnumE0ENS_16TensorDescriptorINS5_IJNS_5EmbedINS5_IJiiiEEESD_Lb0EEENS_11PassThroughIiEENS_3PadIiiiLb0EEESG_SG_NSC_INS5_IJiiEEESJ_Lb0EEESG_NS_23Merge_v2_magic_divisionISJ_EESM_NS_8RightPadIiiLb0EEESO_NS_7UnMergeISJ_Lb0EEESG_EEENS5_IJNS_8SequenceIJLi0EEEENSS_IJLi1EEEENSS_IJLi2EEEENSS_IJLi3EEEENSS_IJLi4EEEENSS_IJLi5EEEENSS_IJLi6EEEENSS_IJLi7ELi9EEEENSS_IJLi8ELi10EEEENSS_IJLi11EEEENSS_IJLi12EEEENSS_IJLi14EEEENSS_IJLi13EEEEEEENS5_IJNSS_IJLi1ELi2ELi3EEEESX_SY_SZ_NSS_IJLi7EEEENSS_IJLi8ELi9EEEENSS_IJLi10EEEES12_S13_S15_S14_NSS_IJLi15ELi16EEEENSS_IJLi17EEEEEEENSS_IJLi15ELi17ELi16EEEElEENSB_INS5_IJSQ_SO_SO_SQ_SG_EEENS5_IJST_SU_SV_SX_SW_EEENS5_IJNSS_IJLi1ELi2EEEESW_SX_NSS_IJLi5ELi6EEEES18_EEENSS_IJLi5ELi7ELi6EEEElEENSB_INS5_IJSK_SO_SO_EEENS5_IJST_SU_SV_EEENS5_IJS1I_SW_SX_EEENSS_IJLi3ELi4EEEElEELi128ELi128ELi16ELi2ELi4ELi4ELi1ENSS_IJLi8ELi2EEEES1S_NSS_IJLi8ELi1ELi1ELi2EEEENSS_IJLi2ELi1ELi128ELi1EEEENSS_IJLi1ELi2ELi0ELi3EEEES1V_NSS_IJLi4ELi1ELi1ELi2EEEES1V_NSS_IJLi1ELi1ELi1ELi2EEEES1T_S1U_S1V_S1V_S1W_S1V_S1X_NSS_IJLi0ELi1ELi2ELi3ELi4ELi5EEEELi5ELi4EEEDF16_NS5_IJPKDF16_EEEDF16_S8_S8_S9_NSB_INS5_IJSE_SG_SI_SG_SG_SK_SG_SM_SM_SO_SO_SQ_SG_SG_NSP_INS5_IJiNS_17integral_constantIiLi128EEEEEELb0EEENSF_INS23_IiLi2EEEEEEEENS5_IJST_SU_SV_SW_SX_SY_SZ_S10_S11_S12_S13_S14_S15_NSS_IJLi15EEEES1C_NSS_IJLi16EEEEEEENS5_IJS17_SX_SY_SZ_S18_S19_S1A_S12_S13_S15_S14_S1B_S1C_NSS_IJLi18EEEENSS_IJLi19ELi20EEEENSS_IJLi21EEEEEEENSS_IJLi18ELi19ELi20ELi21EEEElEENSB_INS5_IJSQ_SO_SO_SQ_SG_SG_S26_S28_EEENS5_IJST_SU_SV_SX_SW_SY_S18_SZ_EEENS5_IJS1I_SW_SX_S1J_S18_NSS_IJLi8EEEENSS_IJLi9ELi10EEEES12_EEENSS_IJLi8ELi9ELi10ELi11EEEElEENS5_IJNSB_INS5_IJSK_SO_SO_NSP_INS5_IJiS27_NS23_IiLi64EEEEEELb0EEES2S_EEENS5_IJST_SU_SV_SW_SX_EEENS5_IJS1I_SW_SX_NSS_IJLi5ELi6ELi7EEEENSS_IJLi8ELi9ELi10EEEEEEENSS_IJLi5ELi6ELi7ELi8ELi9ELi10EEEElEEEEES2Z_NS_31BlockToCTileMap_M00_N00_M01_N01ILi128ELi128ES1R_Lb0EEENS1_30ComputePtrOffsetOfStridedBatchILi1ELi1ELi1EvEELb0ELb0EEEvPKT0_S37_T1_PT2_T3_T4_T5_iT6_T7_T8_T9_T10_T11_
; %bb.0:
	s_clause 0x4
	s_load_dword s0, s[4:5], 0x24
	s_load_dword s26, s[4:5], 0xc4
	s_load_dwordx4 s[40:43], s[4:5], 0x234
	s_load_dword s2, s[4:5], 0x288
	s_load_dwordx4 s[36:39], s[4:5], 0x248
	v_lshrrev_b32_e32 v22, 1, v0
	v_lshlrev_b32_e32 v23, 1, v0
	v_mov_b32_e32 v65, 0
	v_mov_b32_e32 v66, 0
	;; [unrolled: 1-line block ×3, first 2 shown]
	v_lshlrev_b32_e32 v80, 2, v22
	v_and_b32_e32 v71, 0x1f8, v23
	v_mov_b32_e32 v47, 0
	v_mov_b32_e32 v61, 0
	;; [unrolled: 1-line block ×8, first 2 shown]
	s_waitcnt lgkmcnt(0)
	s_abs_i32 s1, s0
	v_mov_b32_e32 v37, 0
	v_cvt_f32_u32_e32 v1, s1
	s_sub_i32 s7, 0, s1
	s_abs_i32 s8, s2
	s_xor_b32 s0, s2, s0
	v_mov_b32_e32 v52, 0
	v_rcp_iflag_f32_e32 v1, v1
	s_ashr_i32 s0, s0, 31
	v_mov_b32_e32 v53, 0
	v_mov_b32_e32 v27, 0
	;; [unrolled: 1-line block ×8, first 2 shown]
	v_mul_f32_e32 v1, 0x4f7ffffe, v1
	v_mov_b32_e32 v69, 0
	v_mov_b32_e32 v42, 0
	;; [unrolled: 1-line block ×4, first 2 shown]
	v_cvt_u32_f32_e32 v1, v1
	v_mov_b32_e32 v64, 0
	v_mov_b32_e32 v35, 0
	;; [unrolled: 1-line block ×4, first 2 shown]
	v_readfirstlane_b32 s3, v1
	v_mov_b32_e32 v58, 0
	v_mov_b32_e32 v32, 0
	;; [unrolled: 1-line block ×4, first 2 shown]
	s_mul_i32 s7, s7, s3
	v_mov_b32_e32 v60, 0
	s_mul_hi_u32 s7, s3, s7
	v_mov_b32_e32 v16, 0
	s_add_i32 s3, s3, s7
	v_mov_b32_e32 v17, 0
	s_mul_hi_u32 s3, s8, s3
	v_mov_b32_e32 v54, 0
	s_mul_i32 s2, s3, s1
	s_add_i32 s7, s3, 1
	s_sub_i32 s2, s8, s2
	v_mov_b32_e32 v55, 0
	s_sub_i32 s8, s2, s1
	s_cmp_ge_u32 s2, s1
	v_mov_b32_e32 v20, 0
	s_cselect_b32 s3, s7, s3
	s_cselect_b32 s2, s8, s2
	s_add_i32 s7, s3, 1
	s_cmp_ge_u32 s2, s1
	s_load_dwordx8 s[8:15], s[4:5], 0x260
	s_cselect_b32 s1, s7, s3
	s_abs_i32 s7, s6
	s_xor_b32 s1, s1, s0
	v_mov_b32_e32 v21, 0
	s_sub_i32 s0, s1, s0
	v_mov_b32_e32 v50, 0
	s_abs_i32 s1, s0
	s_xor_b32 s0, s6, s0
	v_cvt_f32_u32_e32 v1, s1
	s_sub_i32 s3, 0, s1
	s_ashr_i32 s0, s0, 31
	v_mov_b32_e32 v51, 0
	v_mov_b32_e32 v25, 0
	v_rcp_iflag_f32_e32 v1, v1
	v_mov_b32_e32 v26, 0
	v_mov_b32_e32 v48, 0
	;; [unrolled: 1-line block ×9, first 2 shown]
	v_mul_f32_e32 v1, 0x4f7ffffe, v1
	v_mov_b32_e32 v19, 0
	v_cvt_u32_f32_e32 v1, v1
	v_readfirstlane_b32 s2, v1
	v_lshlrev_b32_e32 v1, 3, v0
	s_mul_i32 s3, s3, s2
	v_and_b32_e32 v31, 8, v1
	s_mul_hi_u32 s3, s2, s3
	s_add_i32 s2, s2, s3
	v_mul_lo_u32 v33, s26, v31
	s_mul_hi_u32 s2, s7, s2
	s_mul_i32 s3, s2, s1
	s_sub_i32 s3, s7, s3
	s_add_i32 s7, s2, 1
	s_sub_i32 s16, s3, s1
	s_cmp_ge_u32 s3, s1
	v_lshl_add_u32 v39, s26, 2, v33
	s_cselect_b32 s2, s7, s2
	s_cselect_b32 s3, s16, s3
	s_load_dwordx8 s[16:23], s[4:5], 0x0
	s_add_i32 s7, s2, 1
	s_cmp_ge_u32 s3, s1
	s_cselect_b32 s1, s7, s2
	s_xor_b32 s1, s1, s0
	s_sub_i32 s7, s1, s0
	s_ashr_i32 s1, s7, 31
	s_waitcnt lgkmcnt(0)
	s_mul_hi_u32 s3, s8, s7
	s_mul_i32 s0, s8, s7
	s_mul_hi_u32 s24, s10, s7
	s_mul_hi_u32 s27, s12, s7
	s_mul_i32 s8, s8, s1
	s_mul_i32 s28, s10, s1
	;; [unrolled: 1-line block ×6, first 2 shown]
	s_add_i32 s3, s3, s8
	s_add_i32 s8, s24, s28
	;; [unrolled: 1-line block ×3, first 2 shown]
	s_mul_hi_u32 s25, s14, s7
	s_mul_i32 s2, s12, s7
	s_add_i32 s1, s3, s9
	s_add_i32 s3, s24, s13
	s_mul_i32 s11, s11, s7
	s_mul_i32 s15, s15, s7
	s_add_i32 s12, s25, s29
	s_lshl_b64 s[2:3], s[2:3], 1
	s_add_i32 s9, s8, s11
	s_add_i32 s11, s12, s15
	s_add_u32 s24, s20, s2
	s_addc_u32 s25, s21, s3
	s_lshl_b64 s[0:1], s[0:1], 1
	s_mul_i32 s8, s10, s7
	s_add_u32 s20, s16, s0
	s_addc_u32 s21, s17, s1
	s_lshl_b64 s[0:1], s[8:9], 1
	s_mul_i32 s10, s14, s7
	s_add_u32 s0, s18, s0
	s_addc_u32 s1, s19, s1
	s_lshl_b64 s[2:3], s[10:11], 1
	s_mul_hi_u32 s7, s43, s6
	s_add_u32 s16, s22, s2
	s_addc_u32 s17, s23, s3
	s_add_i32 s2, s6, s7
	s_load_dwordx4 s[28:31], s[4:5], 0x220
	s_lshr_b32 s18, s2, s39
	s_load_dword s3, s[4:5], 0x94
	s_mul_hi_u32 s2, s18, s42
	s_mov_b32 s23, 0x31014000
	s_add_i32 s2, s18, s2
	s_and_b32 s1, s1, 0xffff
	s_lshr_b32 s19, s2, s38
	s_load_dword s2, s[4:5], 0x204
	s_mul_hi_u32 s7, s19, s41
	s_and_b32 s21, s21, 0xffff
	s_add_i32 s8, s19, s7
	s_clause 0x4
	s_load_dword s22, s[4:5], 0xe8
	s_load_dword s27, s[4:5], 0xf8
	;; [unrolled: 1-line block ×5, first 2 shown]
	s_lshr_b32 s35, s8, s37
	s_clause 0x3
	s_load_dword s9, s[4:5], 0x78
	s_load_dword s37, s[4:5], 0x80
	;; [unrolled: 1-line block ×4, first 2 shown]
	s_mul_hi_u32 s8, s35, s40
	s_load_dword s40, s[4:5], 0x214
	s_add_i32 s8, s35, s8
	s_and_b32 s25, s25, 0xffff
	s_lshr_b32 s8, s8, s36
	s_waitcnt lgkmcnt(0)
	s_mul_i32 s10, s19, s30
	s_mul_i32 s8, s8, s28
	s_sub_i32 s10, s18, s10
	s_sub_i32 s8, s35, s8
	s_mul_i32 s35, s35, s29
	s_mul_i32 s18, s18, s31
	s_and_b32 s17, s17, 0xffff
	s_sub_i32 s6, s6, s18
	s_mul_i32 s8, s8, s2
	s_lshl_b32 s22, s22, 1
	s_add_i32 s10, s10, s8
	s_lshl_b32 s26, s10, 7
	v_mul_lo_u32 v13, s34, v31
	v_or_b32_e32 v75, s26, v22
	v_mul_hi_u32 v3, v75, s9
	s_load_dwordx8 s[8:15], s[4:5], 0x34
	s_waitcnt lgkmcnt(0)
	s_clause 0x1
	s_load_dword s11, s[4:5], 0x148
	s_load_dword s30, s[4:5], 0x48
	v_mul_hi_u32 v2, v39, s3
	v_mul_hi_u32 v1, v33, s3
	s_clause 0x1
	s_load_dword s28, s[4:5], 0x70
	s_load_dwordx2 s[2:3], s[4:5], 0x60
	s_sub_i32 s13, s19, s35
	s_mul_i32 s13, s13, s40
	s_add_i32 s6, s6, s13
	v_add_nc_u32_e32 v2, v39, v2
	v_add_nc_u32_e32 v1, v33, v1
	s_lshl_b32 s29, s6, 7
	s_lshl_b32 s6, s34, 2
	v_or_b32_e32 v78, s29, v22
	v_lshrrev_b32_e32 v4, s39, v2
	v_add_nc_u32_e32 v2, v75, v3
	v_lshrrev_b32_e32 v1, s39, v1
	v_mov_b32_e32 v22, 0
	v_lshrrev_b32_e32 v6, s37, v2
	v_mul_lo_u32 v3, v1, s38
	v_sub_nc_u32_e32 v5, v4, v1
	s_waitcnt lgkmcnt(0)
	v_mul_lo_u32 v1, v1, s2
	v_mul_lo_u32 v7, v6, s28
	v_mul_lo_u32 v6, v6, s8
	v_mul_lo_u32 v77, v5, s2
	s_lshl_b32 s2, s11, 1
	v_sub_nc_u32_e32 v2, v33, v3
	v_sub_nc_u32_e32 v7, v75, v7
	v_mad_u64_u32 v[3:4], null, v4, s38, v[2:3]
	v_mad_u64_u32 v[4:5], null, v78, s27, v[13:14]
	;; [unrolled: 1-line block ×3, first 2 shown]
	v_mul_lo_u32 v5, v77, s9
	v_mul_lo_u32 v7, v2, s10
	v_sub_nc_u32_e32 v8, v39, v3
	s_mov_b32 s3, s23
	v_lshlrev_b32_e32 v2, 1, v4
	v_add_lshl_u32 v12, v4, s6, 1
	v_subrev_nc_u32_e32 v1, s30, v14
	s_clause 0x3
	s_load_dwordx2 s[18:19], s[4:5], 0x158
	s_load_dword s15, s[4:5], 0x164
	s_load_dword s28, s[4:5], 0x170
	;; [unrolled: 1-line block ×3, first 2 shown]
	v_mad_u64_u32 v[9:10], null, v8, s10, v[5:6]
	v_mul_lo_u32 v11, v1, s9
	buffer_load_dwordx4 v[1:4], v2, s[0:3], 0 offen
	v_add3_u32 v10, v6, v7, v11
	buffer_load_dwordx4 v[5:8], v12, s[0:3], 0 offen
	v_cmp_gt_i32_e64 s0, s33, v13
	v_lshlrev_b32_e32 v11, 1, v10
	v_add_lshl_u32 v15, v9, v10, 1
	s_clause 0x1
	buffer_load_dwordx4 v[9:12], v11, s[20:23], 0 offen
	buffer_load_dwordx4 v[84:87], v15, s[20:23], 0 offen
	s_clause 0x5
	s_load_dword s20, s[4:5], 0xa8
	s_load_dword s1, s[4:5], 0xb4
	s_load_dwordx2 s[8:9], s[4:5], 0x1a8
	s_load_dword s10, s[4:5], 0x1b4
	s_load_dword s11, s[4:5], 0x1c0
	;; [unrolled: 1-line block ×3, first 2 shown]
	v_lshrrev_b32_e32 v15, 5, v0
	v_cmp_gt_i32_e64 s4, s7, v78
	v_lshlrev_b32_e32 v0, 2, v0
	v_cmp_le_i32_e64 s5, s30, v14
	v_mov_b32_e32 v78, 0
	v_lshlrev_b32_e32 v67, 6, v15
	v_lshlrev_b32_e32 v15, 3, v15
	s_and_b32 s0, s0, s4
	v_sub_nc_u32_e32 v79, v71, v67
	v_and_or_b32 v83, v23, 4, v15
	v_add_nc_u32_e32 v15, s6, v13
	s_sub_i32 s6, s12, s14
	v_add_nc_u32_e32 v13, v14, v77
	s_waitcnt lgkmcnt(0)
	v_cmp_gt_i32_e32 vcc_lo, s1, v33
	v_cmp_gt_i32_e64 s3, s6, v14
	v_cmp_gt_i32_e64 s2, s33, v15
	;; [unrolled: 1-line block ×5, first 2 shown]
	s_and_b32 s3, s3, vcc_lo
	v_cmp_le_i32_e32 vcc_lo, s30, v13
	v_and_or_b32 v82, v0, 4, v79
	v_lshl_or_b32 v0, v31, 9, v80
	s_and_b32 s3, s3, s5
	s_and_b32 s1, s6, s1
	v_lshlrev_b32_e32 v80, 2, v83
	s_and_b32 s1, s1, vcc_lo
	s_and_b32 vcc_lo, s7, s3
	v_lshlrev_b32_e32 v81, 2, v82
	v_mov_b32_e32 v71, 0
	v_mov_b32_e32 v67, 0
	;; [unrolled: 1-line block ×9, first 2 shown]
	v_or_b32_e32 v83, s26, v83
	v_add_nc_u32_e32 v82, s29, v82
	s_lshl_b32 s26, s27, 1
	s_mov_b32 s27, s23
	s_waitcnt vmcnt(3)
	v_cndmask_b32_e64 v4, 0, v4, s0
	v_cndmask_b32_e64 v3, 0, v3, s0
	v_cndmask_b32_e64 v2, 0, v2, s0
	v_cndmask_b32_e64 v1, 0, v1, s0
	s_and_b32 s0, s2, s4
	s_waitcnt vmcnt(2)
	v_cndmask_b32_e64 v6, 0, v6, s0
	v_cndmask_b32_e64 v5, 0, v5, s0
	;; [unrolled: 1-line block ×4, first 2 shown]
	ds_write2st64_b32 v0, v1, v2 offset0:64 offset1:66
	ds_write2st64_b32 v0, v3, v4 offset0:68 offset1:70
	;; [unrolled: 1-line block ×3, first 2 shown]
	s_lshl_b32 s0, s19, 6
	s_waitcnt vmcnt(1)
	v_cndmask_b32_e32 v1, 0, v12, vcc_lo
	v_cndmask_b32_e32 v2, 0, v11, vcc_lo
	;; [unrolled: 1-line block ×4, first 2 shown]
	s_and_b32 vcc_lo, s7, s1
	s_waitcnt vmcnt(0)
	v_cndmask_b32_e32 v6, 0, v85, vcc_lo
	v_cndmask_b32_e32 v9, 0, v84, vcc_lo
	;; [unrolled: 1-line block ×4, first 2 shown]
	ds_write2st64_b32 v0, v7, v8 offset0:76 offset1:78
	ds_write2st64_b32 v0, v4, v3 offset1:2
	ds_write2st64_b32 v0, v2, v1 offset0:4 offset1:6
	ds_write2st64_b32 v0, v9, v6 offset0:8 offset1:10
	;; [unrolled: 1-line block ×3, first 2 shown]
	s_waitcnt lgkmcnt(0)
	s_barrier
	buffer_gl0_inv
	ds_read_b128 v[12:15], v80
	ds_read_b128 v[84:87], v81 offset:16384
	ds_read_b128 v[88:91], v81 offset:16640
	;; [unrolled: 1-line block ×13, first 2 shown]
	v_cmp_gt_i32_e32 vcc_lo, s28, v82
	s_waitcnt lgkmcnt(10)
	v_dot2c_f32_f16 v74, v92, v88
	v_dot2c_f32_f16 v70, v92, v89
	;; [unrolled: 1-line block ×56, first 2 shown]
	ds_read_b128 v[12:15], v80 offset:1536
	ds_read_b128 v[84:87], v80 offset:1792
	v_dot2c_f32_f16 v78, v94, v88
	v_dot2c_f32_f16 v79, v94, v89
	;; [unrolled: 1-line block ×8, first 2 shown]
	ds_read_b128 v[88:91], v81 offset:18432
	ds_read_b128 v[92:95], v81 offset:18688
	s_waitcnt lgkmcnt(11)
	v_dot2c_f32_f16 v65, v96, v8
	v_dot2c_f32_f16 v66, v96, v9
	;; [unrolled: 1-line block ×32, first 2 shown]
	s_waitcnt lgkmcnt(10)
	v_dot2c_f32_f16 v59, v4, v8
	v_dot2c_f32_f16 v60, v4, v9
	;; [unrolled: 1-line block ×16, first 2 shown]
	ds_read_b128 v[8:11], v80 offset:2048
	ds_read_b128 v[96:99], v80 offset:2304
	s_waitcnt lgkmcnt(9)
	v_dot2c_f32_f16 v65, v108, v100
	v_dot2c_f32_f16 v66, v108, v101
	;; [unrolled: 1-line block ×32, first 2 shown]
	s_waitcnt lgkmcnt(5)
	v_dot2c_f32_f16 v65, v12, v116
	v_dot2c_f32_f16 v66, v12, v117
	;; [unrolled: 1-line block ×48, first 2 shown]
	s_waitcnt lgkmcnt(1)
	v_dot2c_f32_f16 v65, v8, v88
	v_dot2c_f32_f16 v66, v8, v89
	;; [unrolled: 1-line block ×32, first 2 shown]
	ds_read_b128 v[0:3], v80 offset:2560
	ds_read_b128 v[12:15], v80 offset:2816
	;; [unrolled: 1-line block ×4, first 2 shown]
	v_dot2c_f32_f16 v59, v112, v100
	v_dot2c_f32_f16 v60, v112, v101
	;; [unrolled: 1-line block ×64, first 2 shown]
	s_waitcnt lgkmcnt(4)
	v_dot2c_f32_f16 v59, v96, v88
	v_dot2c_f32_f16 v60, v96, v89
	;; [unrolled: 1-line block ×32, first 2 shown]
	s_waitcnt lgkmcnt(1)
	v_dot2c_f32_f16 v65, v0, v4
	v_dot2c_f32_f16 v66, v0, v5
	;; [unrolled: 1-line block ×16, first 2 shown]
	s_waitcnt lgkmcnt(0)
	v_dot2c_f32_f16 v76, v0, v8
	v_dot2c_f32_f16 v72, v0, v9
	;; [unrolled: 1-line block ×16, first 2 shown]
	ds_read_b128 v[0:3], v80 offset:3072
	v_dot2c_f32_f16 v59, v12, v4
	v_dot2c_f32_f16 v60, v12, v5
	;; [unrolled: 1-line block ×15, first 2 shown]
	ds_read_b128 v[84:87], v81 offset:19456
	v_dot2c_f32_f16 v30, v15, v7
	v_dot2c_f32_f16 v74, v12, v8
	v_dot2c_f32_f16 v70, v12, v9
	v_dot2c_f32_f16 v18, v12, v10
	v_dot2c_f32_f16 v19, v12, v11
	v_dot2c_f32_f16 v71, v13, v8
	v_dot2c_f32_f16 v67, v13, v9
	v_dot2c_f32_f16 v22, v13, v10
	v_dot2c_f32_f16 v23, v13, v11
	v_dot2c_f32_f16 v78, v14, v8
	v_dot2c_f32_f16 v79, v14, v9
	v_dot2c_f32_f16 v31, v14, v10
	v_dot2c_f32_f16 v33, v14, v11
	v_dot2c_f32_f16 v77, v15, v8
	v_dot2c_f32_f16 v75, v15, v9
	ds_read_b128 v[4:7], v81 offset:19712
	v_dot2c_f32_f16 v39, v15, v10
	v_dot2c_f32_f16 v24, v15, v11
	ds_read_b128 v[8:11], v80 offset:3328
	s_waitcnt lgkmcnt(2)
	v_dot2c_f32_f16 v65, v0, v84
	v_dot2c_f32_f16 v66, v0, v85
	;; [unrolled: 1-line block ×16, first 2 shown]
	s_waitcnt lgkmcnt(1)
	v_dot2c_f32_f16 v76, v0, v4
	v_dot2c_f32_f16 v72, v0, v5
	;; [unrolled: 1-line block ×16, first 2 shown]
	ds_read_b128 v[0:3], v80 offset:3584
	s_waitcnt lgkmcnt(1)
	v_dot2c_f32_f16 v59, v8, v84
	v_dot2c_f32_f16 v60, v8, v85
	;; [unrolled: 1-line block ×15, first 2 shown]
	ds_read_b128 v[12:15], v81 offset:19968
	v_dot2c_f32_f16 v30, v11, v87
	v_dot2c_f32_f16 v74, v8, v4
	;; [unrolled: 1-line block ×15, first 2 shown]
	ds_read_b128 v[84:87], v81 offset:20224
	v_dot2c_f32_f16 v39, v11, v6
	v_dot2c_f32_f16 v24, v11, v7
	ds_read_b128 v[4:7], v80 offset:3840
	s_waitcnt lgkmcnt(2)
	v_dot2c_f32_f16 v65, v0, v12
	v_dot2c_f32_f16 v66, v0, v13
	;; [unrolled: 1-line block ×16, first 2 shown]
	s_waitcnt lgkmcnt(1)
	v_dot2c_f32_f16 v76, v0, v84
	v_dot2c_f32_f16 v72, v0, v85
	;; [unrolled: 1-line block ×16, first 2 shown]
	ds_read_b128 v[0:3], v80 offset:4096
	s_waitcnt lgkmcnt(1)
	v_dot2c_f32_f16 v59, v4, v12
	v_dot2c_f32_f16 v60, v4, v13
	;; [unrolled: 1-line block ×15, first 2 shown]
	ds_read_b128 v[8:11], v81 offset:20480
	v_dot2c_f32_f16 v30, v7, v15
	v_dot2c_f32_f16 v74, v4, v84
	;; [unrolled: 1-line block ×15, first 2 shown]
	ds_read_b128 v[12:15], v81 offset:20736
	v_dot2c_f32_f16 v39, v7, v86
	v_dot2c_f32_f16 v24, v7, v87
	ds_read_b128 v[4:7], v80 offset:4352
	s_waitcnt lgkmcnt(2)
	v_dot2c_f32_f16 v65, v0, v8
	v_dot2c_f32_f16 v66, v0, v9
	;; [unrolled: 1-line block ×16, first 2 shown]
	s_waitcnt lgkmcnt(1)
	v_dot2c_f32_f16 v76, v0, v12
	v_dot2c_f32_f16 v72, v0, v13
	;; [unrolled: 1-line block ×16, first 2 shown]
	ds_read_b128 v[0:3], v80 offset:4608
	s_waitcnt lgkmcnt(1)
	v_dot2c_f32_f16 v59, v4, v8
	v_dot2c_f32_f16 v60, v4, v9
	;; [unrolled: 1-line block ×15, first 2 shown]
	ds_read_b128 v[84:87], v81 offset:20992
	v_dot2c_f32_f16 v30, v7, v11
	v_dot2c_f32_f16 v74, v4, v12
	;; [unrolled: 1-line block ×15, first 2 shown]
	ds_read_b128 v[8:11], v81 offset:21248
	v_dot2c_f32_f16 v39, v7, v14
	v_dot2c_f32_f16 v24, v7, v15
	ds_read_b128 v[4:7], v80 offset:4864
	s_waitcnt lgkmcnt(2)
	v_dot2c_f32_f16 v65, v0, v84
	v_dot2c_f32_f16 v66, v0, v85
	;; [unrolled: 1-line block ×16, first 2 shown]
	s_waitcnt lgkmcnt(1)
	v_dot2c_f32_f16 v76, v0, v8
	v_dot2c_f32_f16 v72, v0, v9
	;; [unrolled: 1-line block ×16, first 2 shown]
	ds_read_b128 v[0:3], v80 offset:5120
	s_waitcnt lgkmcnt(1)
	v_dot2c_f32_f16 v59, v4, v84
	v_dot2c_f32_f16 v60, v4, v85
	;; [unrolled: 1-line block ×15, first 2 shown]
	ds_read_b128 v[88:91], v81 offset:21504
	v_dot2c_f32_f16 v30, v7, v87
	v_dot2c_f32_f16 v74, v4, v8
	;; [unrolled: 1-line block ×12, first 2 shown]
	ds_read_b128 v[84:87], v81 offset:21760
	v_dot2c_f32_f16 v39, v7, v10
	v_dot2c_f32_f16 v24, v7, v11
	ds_read_b128 v[5:8], v80 offset:5376
	v_dot2c_f32_f16 v70, v4, v9
	v_dot2c_f32_f16 v18, v4, v10
	;; [unrolled: 1-line block ×3, first 2 shown]
	s_waitcnt lgkmcnt(2)
	v_dot2c_f32_f16 v65, v0, v88
	v_dot2c_f32_f16 v66, v0, v89
	;; [unrolled: 1-line block ×16, first 2 shown]
	s_waitcnt lgkmcnt(1)
	v_dot2c_f32_f16 v76, v0, v84
	v_dot2c_f32_f16 v72, v0, v85
	;; [unrolled: 1-line block ×16, first 2 shown]
	ds_read_b128 v[0:3], v80 offset:5632
	s_waitcnt lgkmcnt(1)
	v_dot2c_f32_f16 v59, v5, v88
	v_dot2c_f32_f16 v60, v5, v89
	;; [unrolled: 1-line block ×15, first 2 shown]
	ds_read_b128 v[12:15], v81 offset:22016
	v_dot2c_f32_f16 v30, v8, v91
	v_dot2c_f32_f16 v74, v5, v84
	;; [unrolled: 1-line block ×15, first 2 shown]
	ds_read_b128 v[4:7], v81 offset:22272
	v_dot2c_f32_f16 v39, v8, v86
	v_dot2c_f32_f16 v24, v8, v87
	ds_read_b128 v[8:11], v80 offset:5888
	v_mul_lo_u32 v84, v83, s18
	s_waitcnt lgkmcnt(2)
	v_dot2c_f32_f16 v65, v0, v12
	v_dot2c_f32_f16 v66, v0, v13
	;; [unrolled: 1-line block ×7, first 2 shown]
	v_mad_u64_u32 v[84:85], null, v82, s19, v[84:85]
	v_dot2c_f32_f16 v41, v1, v15
	v_dot2c_f32_f16 v56, v2, v12
	;; [unrolled: 1-line block ×9, first 2 shown]
	s_waitcnt lgkmcnt(0)
	v_dot2c_f32_f16 v59, v8, v12
	v_dot2c_f32_f16 v60, v8, v13
	;; [unrolled: 1-line block ×8, first 2 shown]
	v_lshlrev_b32_e32 v8, 1, v84
	v_dot2c_f32_f16 v76, v0, v4
	v_dot2c_f32_f16 v72, v0, v5
	;; [unrolled: 1-line block ×4, first 2 shown]
	buffer_load_dwordx2 v[88:89], v8, s[24:27], 0 offen
	v_add_lshl_u32 v8, v84, s0, 1
	v_add_nc_u32_e32 v84, s18, v84
	v_dot2c_f32_f16 v73, v1, v4
	v_dot2c_f32_f16 v69, v1, v5
	;; [unrolled: 1-line block ×3, first 2 shown]
	buffer_load_dwordx2 v[90:91], v8, s[24:27], 0 offen
	v_lshlrev_b32_e32 v85, 1, v84
	v_dot2c_f32_f16 v43, v1, v7
	v_dot2c_f32_f16 v68, v2, v4
	;; [unrolled: 1-line block ×4, first 2 shown]
	buffer_load_dwordx2 v[92:93], v85, s[24:27], 0 offen
	v_dot2c_f32_f16 v38, v2, v7
	v_dot2c_f32_f16 v63, v3, v4
	;; [unrolled: 1-line block ×5, first 2 shown]
	ds_read_b128 v[0:3], v80 offset:6144
	v_dot2c_f32_f16 v54, v9, v12
	v_dot2c_f32_f16 v55, v9, v13
	;; [unrolled: 1-line block ×12, first 2 shown]
	ds_read_b128 v[12:15], v81 offset:22528
	v_dot2c_f32_f16 v71, v9, v4
	v_dot2c_f32_f16 v67, v9, v5
	;; [unrolled: 1-line block ×12, first 2 shown]
	ds_read_b128 v[4:7], v81 offset:22784
	v_add_lshl_u32 v86, v84, s0, 1
	v_add_nc_u32_e32 v84, s18, v84
	s_mov_b32 s19, s23
	buffer_load_dwordx2 v[94:95], v86, s[24:27], 0 offen
	v_lshlrev_b32_e32 v85, 1, v84
	v_add_lshl_u32 v86, v84, s0, 1
	v_add_nc_u32_e32 v84, s18, v84
	ds_read_b128 v[8:11], v80 offset:6400
	s_waitcnt lgkmcnt(2)
	v_dot2c_f32_f16 v65, v0, v12
	s_clause 0x1
	buffer_load_dwordx2 v[96:97], v85, s[24:27], 0 offen
	buffer_load_dwordx2 v[98:99], v86, s[24:27], 0 offen
	v_dot2c_f32_f16 v66, v0, v13
	v_dot2c_f32_f16 v46, v0, v14
	;; [unrolled: 1-line block ×3, first 2 shown]
	v_add_lshl_u32 v85, v84, s0, 1
	v_dot2c_f32_f16 v61, v1, v12
	v_dot2c_f32_f16 v62, v1, v13
	s_waitcnt lgkmcnt(1)
	v_dot2c_f32_f16 v76, v0, v4
	v_dot2c_f32_f16 v72, v0, v5
	;; [unrolled: 1-line block ×4, first 2 shown]
	v_lshlrev_b32_e32 v0, 1, v84
	buffer_load_dwordx2 v[102:103], v85, s[24:27], 0 offen
	v_mad_u64_u32 v[84:85], null, s18, 61, v[84:85]
	v_dot2c_f32_f16 v40, v1, v14
	buffer_load_dwordx2 v[100:101], v0, s[24:27], 0 offen
	s_waitcnt lgkmcnt(0)
	v_dot2c_f32_f16 v59, v8, v12
	v_dot2c_f32_f16 v60, v8, v13
	;; [unrolled: 1-line block ×4, first 2 shown]
	v_add_lshl_u32 v86, v84, s0, 1
	v_lshlrev_b32_e32 v85, 1, v84
	v_add_nc_u32_e32 v84, s18, v84
	v_dot2c_f32_f16 v54, v9, v12
	v_dot2c_f32_f16 v55, v9, v13
	s_clause 0x1
	buffer_load_dwordx2 v[106:107], v86, s[24:27], 0 offen
	buffer_load_dwordx2 v[104:105], v85, s[24:27], 0 offen
	v_dot2c_f32_f16 v20, v9, v14
	v_dot2c_f32_f16 v21, v9, v15
	;; [unrolled: 1-line block ×10, first 2 shown]
	v_lshlrev_b32_e32 v8, 1, v84
	v_add_lshl_u32 v9, v84, s0, 1
	v_dot2c_f32_f16 v41, v1, v15
	v_dot2c_f32_f16 v56, v2, v12
	;; [unrolled: 1-line block ×29, first 2 shown]
	ds_read_b128 v[12:15], v81 offset:23040
	s_clause 0x1
	buffer_load_dwordx2 v[108:109], v8, s[24:27], 0 offen
	buffer_load_dwordx2 v[110:111], v9, s[24:27], 0 offen
	ds_read_b128 v[0:3], v80 offset:6656
	v_dot2c_f32_f16 v78, v10, v4
	v_dot2c_f32_f16 v79, v10, v5
	;; [unrolled: 1-line block ×8, first 2 shown]
	ds_read_b128 v[4:7], v81 offset:23296
	ds_read_b128 v[8:11], v80 offset:6912
	v_add_nc_u32_e32 v84, s18, v84
	v_lshlrev_b32_e32 v85, 1, v84
	buffer_load_dwordx2 v[112:113], v85, s[24:27], 0 offen
	v_add_lshl_u32 v85, v84, s0, 1
	v_add_nc_u32_e32 v84, s18, v84
	s_waitcnt lgkmcnt(2)
	v_dot2c_f32_f16 v65, v0, v12
	v_dot2c_f32_f16 v66, v0, v13
	v_dot2c_f32_f16 v46, v0, v14
	v_dot2c_f32_f16 v47, v0, v15
	buffer_load_dwordx2 v[114:115], v85, s[24:27], 0 offen
	s_waitcnt lgkmcnt(1)
	v_dot2c_f32_f16 v76, v0, v4
	v_dot2c_f32_f16 v72, v0, v5
	;; [unrolled: 1-line block ×4, first 2 shown]
	v_add_lshl_u32 v0, v84, s0, 1
	v_dot2c_f32_f16 v61, v1, v12
	v_dot2c_f32_f16 v62, v1, v13
	;; [unrolled: 1-line block ×4, first 2 shown]
	buffer_load_dwordx2 v[118:119], v0, s[24:27], 0 offen
	v_lshlrev_b32_e32 v85, 1, v84
	v_dot2c_f32_f16 v56, v2, v12
	v_dot2c_f32_f16 v57, v2, v13
	;; [unrolled: 1-line block ×4, first 2 shown]
	buffer_load_dwordx2 v[116:117], v85, s[24:27], 0 offen
	v_dot2c_f32_f16 v52, v3, v12
	v_dot2c_f32_f16 v53, v3, v13
	;; [unrolled: 1-line block ×16, first 2 shown]
	ds_read_b128 v[0:3], v80 offset:7168
	s_waitcnt lgkmcnt(1)
	v_dot2c_f32_f16 v59, v8, v12
	v_dot2c_f32_f16 v60, v8, v13
	;; [unrolled: 1-line block ×15, first 2 shown]
	ds_read_b128 v[84:87], v81 offset:23552
	v_dot2c_f32_f16 v30, v11, v15
	v_dot2c_f32_f16 v74, v8, v4
	v_dot2c_f32_f16 v70, v8, v5
	v_dot2c_f32_f16 v18, v8, v6
	v_dot2c_f32_f16 v19, v8, v7
	v_dot2c_f32_f16 v71, v9, v4
	v_dot2c_f32_f16 v67, v9, v5
	v_dot2c_f32_f16 v22, v9, v6
	v_dot2c_f32_f16 v23, v9, v7
	v_dot2c_f32_f16 v78, v10, v4
	v_dot2c_f32_f16 v79, v10, v5
	v_dot2c_f32_f16 v31, v10, v6
	v_dot2c_f32_f16 v33, v10, v7
	v_dot2c_f32_f16 v77, v11, v4
	v_dot2c_f32_f16 v75, v11, v5
	ds_read_b128 v[12:15], v81 offset:23808
	v_dot2c_f32_f16 v39, v11, v6
	v_dot2c_f32_f16 v24, v11, v7
	ds_read_b128 v[4:7], v80 offset:7424
	s_waitcnt lgkmcnt(2)
	v_dot2c_f32_f16 v65, v0, v84
	v_dot2c_f32_f16 v66, v0, v85
	;; [unrolled: 1-line block ×16, first 2 shown]
	s_waitcnt lgkmcnt(1)
	v_dot2c_f32_f16 v76, v0, v12
	v_dot2c_f32_f16 v72, v0, v13
	;; [unrolled: 1-line block ×16, first 2 shown]
	ds_read_b128 v[0:3], v80 offset:7680
	s_waitcnt lgkmcnt(1)
	v_dot2c_f32_f16 v59, v4, v84
	v_dot2c_f32_f16 v60, v4, v85
	;; [unrolled: 1-line block ×15, first 2 shown]
	ds_read_b128 v[8:11], v81 offset:24064
	v_dot2c_f32_f16 v30, v7, v87
	v_dot2c_f32_f16 v74, v4, v12
	v_dot2c_f32_f16 v70, v4, v13
	v_dot2c_f32_f16 v18, v4, v14
	v_dot2c_f32_f16 v19, v4, v15
	v_dot2c_f32_f16 v71, v5, v12
	v_dot2c_f32_f16 v67, v5, v13
	v_dot2c_f32_f16 v22, v5, v14
	v_dot2c_f32_f16 v23, v5, v15
	v_dot2c_f32_f16 v78, v6, v12
	v_dot2c_f32_f16 v79, v6, v13
	v_dot2c_f32_f16 v31, v6, v14
	v_dot2c_f32_f16 v33, v6, v15
	v_dot2c_f32_f16 v77, v7, v12
	v_dot2c_f32_f16 v75, v7, v13
	v_dot2c_f32_f16 v39, v7, v14
	v_dot2c_f32_f16 v24, v7, v15
	ds_read_b128 v[4:7], v80 offset:7936
	ds_read_b128 v[84:87], v81 offset:24320
	v_cmp_gt_i32_e64 s0, s15, v83
	s_waitcnt lgkmcnt(2)
	v_dot2c_f32_f16 v46, v0, v10
	v_dot2c_f32_f16 v40, v1, v10
	;; [unrolled: 1-line block ×4, first 2 shown]
	s_and_b32 s1, s0, vcc_lo
	v_dot2c_f32_f16 v65, v0, v8
	v_dot2c_f32_f16 v66, v0, v9
	;; [unrolled: 1-line block ×6, first 2 shown]
	v_or_b32_e32 v12, 1, v83
	v_dot2c_f32_f16 v62, v1, v9
	v_dot2c_f32_f16 v41, v1, v11
	;; [unrolled: 1-line block ×5, first 2 shown]
	s_waitcnt lgkmcnt(1)
	v_dot2c_f32_f16 v16, v4, v10
	v_dot2c_f32_f16 v20, v5, v10
	;; [unrolled: 1-line block ×4, first 2 shown]
	v_add_nc_u32_e32 v10, 64, v82
	s_waitcnt lgkmcnt(0)
	v_dot2c_f32_f16 v76, v0, v84
	v_dot2c_f32_f16 v72, v0, v85
	v_dot2c_f32_f16 v44, v0, v86
	v_dot2c_f32_f16 v45, v0, v87
	v_dot2c_f32_f16 v59, v4, v8
	v_dot2c_f32_f16 v54, v5, v8
	v_dot2c_f32_f16 v50, v6, v8
	v_dot2c_f32_f16 v48, v7, v8
	s_waitcnt vmcnt(15)
	v_cndmask_b32_e64 v8, 0, v89, s1
	v_cndmask_b32_e64 v0, 0, v88, s1
	v_cmp_gt_i32_e64 s1, s28, v10
	v_dot2c_f32_f16 v73, v1, v84
	v_dot2c_f32_f16 v69, v1, v85
	;; [unrolled: 1-line block ×4, first 2 shown]
	s_and_b32 s0, s0, s1
	v_dot2c_f32_f16 v68, v2, v84
	v_dot2c_f32_f16 v64, v2, v85
	;; [unrolled: 1-line block ×4, first 2 shown]
	v_cvt_f32_f16_e32 v1, v0
	v_cvt_f32_f16_sdwa v0, v0 dst_sel:DWORD dst_unused:UNUSED_PAD src0_sel:WORD_1
	s_waitcnt vmcnt(14)
	v_cndmask_b32_e64 v2, 0, v90, s0
	v_dot2c_f32_f16 v17, v4, v11
	v_dot2c_f32_f16 v21, v5, v11
	;; [unrolled: 1-line block ×4, first 2 shown]
	v_cndmask_b32_e64 v11, 0, v91, s0
	v_cmp_gt_i32_e64 s0, s15, v12
	v_dot2c_f32_f16 v53, v3, v9
	v_dot2c_f32_f16 v63, v3, v84
	;; [unrolled: 1-line block ×5, first 2 shown]
	v_add_f32_e32 v1, v65, v1
	v_add_f32_e32 v0, v66, v0
	v_cvt_f32_f16_e32 v3, v2
	s_and_b32 s2, s0, vcc_lo
	v_dot2c_f32_f16 v60, v4, v9
	v_dot2c_f32_f16 v55, v5, v9
	;; [unrolled: 1-line block ×4, first 2 shown]
	v_max_f32_e32 v9, 0, v1
	v_max_f32_e32 v13, 0, v0
	v_add_f32_e32 v0, v76, v3
	s_waitcnt vmcnt(13)
	v_cndmask_b32_e64 v1, 0, v92, s2
	v_or_b32_e32 v66, 2, v83
	s_and_b32 s0, s0, s1
	v_cvt_f32_f16_sdwa v2, v2 dst_sel:DWORD dst_unused:UNUSED_PAD src0_sel:WORD_1
	v_max_f32_e32 v65, 0, v0
	v_cvt_f32_f16_e32 v0, v1
	v_cvt_f32_f16_sdwa v1, v1 dst_sel:DWORD dst_unused:UNUSED_PAD src0_sel:WORD_1
	v_dot2c_f32_f16 v74, v4, v84
	v_dot2c_f32_f16 v70, v4, v85
	s_waitcnt vmcnt(12)
	v_cndmask_b32_e64 v3, 0, v94, s0
	v_cndmask_b32_e64 v15, 0, v95, s0
	v_cmp_gt_i32_e64 s0, s15, v66
	v_add_f32_e32 v0, v61, v0
	v_add_f32_e32 v1, v62, v1
	v_dot2c_f32_f16 v18, v4, v86
	v_dot2c_f32_f16 v19, v4, v87
	v_cvt_f32_f16_e32 v4, v3
	v_add_f32_e32 v2, v72, v2
	v_cndmask_b32_e64 v14, 0, v93, s2
	s_and_b32 s2, s0, vcc_lo
	v_max_f32_e32 v62, 0, v0
	v_max_f32_e32 v72, 0, v1
	v_cvt_f32_f16_sdwa v0, v3 dst_sel:DWORD dst_unused:UNUSED_PAD src0_sel:WORD_1
	s_waitcnt vmcnt(11)
	v_cndmask_b32_e64 v1, 0, v96, s2
	s_and_b32 s0, s0, s1
	v_or_b32_e32 v81, 3, v83
	v_add_f32_e32 v4, v73, v4
	v_max_f32_e32 v61, 0, v2
	s_waitcnt vmcnt(10)
	v_cndmask_b32_e64 v2, 0, v98, s0
	v_cndmask_b32_e64 v80, 0, v99, s0
	v_add_f32_e32 v0, v69, v0
	v_cvt_f32_f16_e32 v3, v1
	v_cmp_gt_i32_e64 s0, s15, v81
	v_max_f32_e32 v73, 0, v4
	v_cvt_f32_f16_sdwa v1, v1 dst_sel:DWORD dst_unused:UNUSED_PAD src0_sel:WORD_1
	v_cvt_f32_f16_e32 v4, v2
	v_cndmask_b32_e64 v76, 0, v97, s2
	v_max_f32_e32 v69, 0, v0
	v_add_f32_e32 v0, v56, v3
	s_and_b32 s2, s0, vcc_lo
	v_add_f32_e32 v1, v57, v1
	v_add_f32_e32 v3, v68, v4
	s_waitcnt vmcnt(8)
	v_cndmask_b32_e64 v4, 0, v100, s2
	v_max_f32_e32 v57, 0, v0
	s_and_b32 s0, s0, s1
	v_or_b32_e32 v0, 64, v83
	v_dot2c_f32_f16 v71, v5, v84
	v_dot2c_f32_f16 v78, v6, v84
	;; [unrolled: 1-line block ×3, first 2 shown]
	v_max_f32_e32 v68, 0, v1
	v_max_f32_e32 v84, 0, v3
	v_cvt_f32_f16_sdwa v1, v2 dst_sel:DWORD dst_unused:UNUSED_PAD src0_sel:WORD_1
	v_cvt_f32_f16_e32 v2, v4
	v_cvt_f32_f16_sdwa v3, v4 dst_sel:DWORD dst_unused:UNUSED_PAD src0_sel:WORD_1
	v_cndmask_b32_e64 v4, 0, v102, s0
	v_dot2c_f32_f16 v67, v5, v85
	v_dot2c_f32_f16 v79, v6, v85
	;; [unrolled: 1-line block ×3, first 2 shown]
	v_cndmask_b32_e64 v85, 0, v103, s0
	v_cmp_gt_i32_e64 s0, s15, v0
	v_dot2c_f32_f16 v22, v5, v86
	v_dot2c_f32_f16 v23, v5, v87
	v_cvt_f32_f16_e32 v5, v4
	v_cvt_f32_f16_sdwa v4, v4 dst_sel:DWORD dst_unused:UNUSED_PAD src0_sel:WORD_1
	v_add_f32_e32 v1, v64, v1
	v_add_f32_e32 v2, v52, v2
	v_cndmask_b32_e64 v56, 0, v101, s2
	s_and_b32 s2, s0, vcc_lo
	s_and_b32 s0, s0, s1
	v_dot2c_f32_f16 v39, v7, v86
	v_dot2c_f32_f16 v24, v7, v87
	s_waitcnt vmcnt(7)
	v_cndmask_b32_e64 v7, 0, v106, s0
	v_add_f32_e32 v58, v58, v4
	v_or_b32_e32 v4, 0x41, v83
	v_add_f32_e32 v3, v53, v3
	v_max_f32_e32 v52, 0, v1
	v_max_f32_e32 v53, 0, v2
	v_add_f32_e32 v1, v63, v5
	s_waitcnt vmcnt(6)
	v_cndmask_b32_e64 v2, 0, v104, s2
	v_dot2c_f32_f16 v31, v6, v86
	v_dot2c_f32_f16 v33, v6, v87
	v_cndmask_b32_e64 v5, 0, v107, s0
	v_cvt_f32_f16_e32 v6, v7
	v_cmp_gt_i32_e64 s0, s15, v4
	v_cvt_f32_f16_sdwa v7, v7 dst_sel:DWORD dst_unused:UNUSED_PAD src0_sel:WORD_1
	v_max_f32_e32 v63, 0, v1
	v_cvt_f32_f16_e32 v1, v2
	v_cvt_f32_f16_sdwa v2, v2 dst_sel:DWORD dst_unused:UNUSED_PAD src0_sel:WORD_1
	v_max_f32_e32 v64, 0, v3
	v_cndmask_b32_e64 v3, 0, v105, s2
	s_and_b32 s2, s0, vcc_lo
	v_add_f32_e32 v7, v70, v7
	v_or_b32_e32 v70, 0x42, v83
	v_add_f32_e32 v2, v60, v2
	s_waitcnt vmcnt(5)
	v_cndmask_b32_e64 v60, 0, v108, s2
	s_and_b32 s0, s0, s1
	v_add_f32_e32 v6, v74, v6
	s_waitcnt vmcnt(4)
	v_cndmask_b32_e64 v74, 0, v111, s0
	v_cndmask_b32_e64 v86, 0, v110, s0
	v_cmp_gt_i32_e64 s0, s15, v70
	v_cvt_f32_f16_e32 v87, v60
	v_cvt_f32_f16_sdwa v60, v60 dst_sel:DWORD dst_unused:UNUSED_PAD src0_sel:WORD_1
	v_add_f32_e32 v1, v59, v1
	v_cndmask_b32_e64 v59, 0, v109, s2
	s_and_b32 s2, s0, vcc_lo
	v_cvt_f32_f16_e32 v88, v86
	v_max_f32_e32 v89, 0, v7
	v_add_f32_e32 v7, v54, v87
	v_add_f32_e32 v54, v55, v60
	v_cvt_f32_f16_sdwa v60, v86 dst_sel:DWORD dst_unused:UNUSED_PAD src0_sel:WORD_1
	s_waitcnt vmcnt(3)
	v_cndmask_b32_e64 v86, 0, v112, s2
	s_and_b32 s0, s0, s1
	v_max_f32_e32 v87, 0, v7
	v_add_f32_e32 v55, v71, v88
	v_add_f32_e32 v7, v67, v60
	v_cvt_f32_f16_e32 v60, v86
	v_cvt_f32_f16_sdwa v67, v86 dst_sel:DWORD dst_unused:UNUSED_PAD src0_sel:WORD_1
	v_or_b32_e32 v86, 0x43, v83
	s_waitcnt vmcnt(2)
	v_cndmask_b32_e64 v88, 0, v115, s0
	v_cndmask_b32_e64 v90, 0, v114, s0
	v_max_f32_e32 v91, 0, v7
	v_add_f32_e32 v7, v50, v60
	v_cmp_gt_i32_e64 s0, s15, v86
	v_add_f32_e32 v50, v51, v67
	v_cvt_f32_f16_e32 v51, v90
	v_cvt_f32_f16_sdwa v60, v90 dst_sel:DWORD dst_unused:UNUSED_PAD src0_sel:WORD_1
	v_max_f32_e32 v92, 0, v7
	s_and_b32 vcc_lo, s0, vcc_lo
	v_cvt_f16_f32_e32 v9, v9
	v_add_f32_e32 v7, v78, v51
	v_add_f32_e32 v51, v79, v60
	s_waitcnt vmcnt(0)
	v_cndmask_b32_e32 v90, 0, v116, vcc_lo
	v_cndmask_b32_e32 v67, 0, v117, vcc_lo
	s_and_b32 vcc_lo, s0, s1
	v_max_f32_e32 v93, 0, v7
	v_cndmask_b32_e32 v79, 0, v118, vcc_lo
	v_cvt_f32_f16_e32 v60, v90
	v_cvt_f32_f16_sdwa v90, v90 dst_sel:DWORD dst_unused:UNUSED_PAD src0_sel:WORD_1
	v_cvt_f16_f32_e32 v13, v13
	v_cndmask_b32_e32 v78, 0, v119, vcc_lo
	v_cmp_gt_i32_e32 vcc_lo, s11, v82
	v_add_f32_e32 v7, v48, v60
	v_cvt_f32_f16_e32 v48, v79
	v_cvt_f32_f16_sdwa v60, v8 dst_sel:DWORD dst_unused:UNUSED_PAD src0_sel:WORD_1
	v_cvt_f32_f16_e32 v8, v8
	v_add_f32_e32 v49, v49, v90
	v_max_f32_e32 v90, 0, v7
	v_add_f32_e32 v7, v77, v48
	v_add_f32_e32 v47, v47, v60
	v_add_f32_e32 v8, v46, v8
	v_max_f32_e32 v48, 0, v49
	v_cmp_gt_i32_e64 s1, s10, v83
	v_max_f32_e32 v49, 0, v7
	v_mul_lo_u32 v7, v83, s8
	v_max_f32_e32 v8, 0, v8
	v_max_f32_e32 v47, 0, v47
	s_and_b32 s0, s1, vcc_lo
	v_cndmask_b32_e64 v71, 0, v113, s2
	s_lshl_b32 s2, s9, 6
	v_cvt_f16_f32_e32 v60, v8
	v_cvt_f16_f32_e32 v47, v47
	v_mad_u64_u32 v[7:8], null, v82, s9, v[7:8]
	v_pack_b32_f16 v8, v9, v13
	v_cvt_f32_f16_sdwa v13, v11 dst_sel:DWORD dst_unused:UNUSED_PAD src0_sel:WORD_1
	v_cvt_f32_f16_e32 v11, v11
	v_pack_b32_f16 v9, v60, v47
	v_cvt_f16_f32_e32 v47, v61
	s_lshl_b32 s18, s13, 1
	v_add_f32_e32 v13, v45, v13
	v_add_f32_e32 v11, v44, v11
	v_cndmask_b32_e64 v44, 0x80000000, 0, s0
	v_cmp_gt_i32_e64 s0, s11, v10
	v_cvt_f16_f32_e32 v10, v65
	v_max_f32_e32 v13, 0, v13
	v_max_f32_e32 v11, 0, v11
	v_add_nc_u32_e32 v45, s2, v7
	s_and_b32 s1, s1, s0
	v_lshl_add_u32 v44, v7, 1, v44
	v_cvt_f16_f32_e32 v13, v13
	v_cvt_f16_f32_e32 v11, v11
	v_cndmask_b32_e64 v60, 0x80000000, 0, s1
	v_pack_b32_f16 v10, v10, v47
	v_cvt_f32_f16_sdwa v47, v15 dst_sel:DWORD dst_unused:UNUSED_PAD src0_sel:WORD_1
	v_cvt_f32_f16_e32 v15, v15
	v_pack_b32_f16 v11, v11, v13
	v_lshl_add_u32 v13, v45, 1, v60
	buffer_store_dwordx2 v[8:9], v44, s[16:19], 0 offen
	buffer_store_dwordx2 v[10:11], v13, s[16:19], 0 offen
	v_add_f32_e32 v43, v43, v47
	v_add_f32_e32 v8, v42, v15
	v_cmp_gt_i32_e64 s1, s10, v12
	v_cvt_f32_f16_sdwa v12, v14 dst_sel:DWORD dst_unused:UNUSED_PAD src0_sel:WORD_1
	v_cvt_f32_f16_e32 v13, v14
	v_max_f32_e32 v9, 0, v43
	v_max_f32_e32 v8, 0, v8
	s_and_b32 s3, s1, s0
	v_add_nc_u32_e32 v15, s8, v45
	v_cvt_f16_f32_e32 v10, v73
	v_cvt_f16_f32_e32 v11, v69
	;; [unrolled: 1-line block ×4, first 2 shown]
	v_cndmask_b32_e64 v42, 0x80000000, 0, s3
	v_add_f32_e32 v12, v41, v12
	v_add_f32_e32 v13, v40, v13
	v_pack_b32_f16 v8, v10, v11
	v_pack_b32_f16 v9, v14, v9
	v_lshl_add_u32 v14, v15, 1, v42
	v_max_f32_e32 v10, 0, v12
	v_max_f32_e32 v11, 0, v13
	v_cvt_f16_f32_e32 v12, v62
	v_cvt_f16_f32_e32 v13, v72
	v_cvt_f32_f16_sdwa v41, v76 dst_sel:DWORD dst_unused:UNUSED_PAD src0_sel:WORD_1
	v_cvt_f32_f16_e32 v42, v76
	v_cvt_f16_f32_e32 v40, v10
	s_and_b32 s1, s1, vcc_lo
	v_pack_b32_f16 v10, v12, v13
	v_add_f32_e32 v12, v37, v41
	v_add_f32_e32 v13, v36, v42
	v_cndmask_b32_e64 v43, 0x80000000, 0, s1
	v_cmp_gt_i32_e64 s1, s10, v66
	v_add_nc_u32_e32 v7, s8, v7
	v_cvt_f16_f32_e32 v11, v11
	v_max_f32_e32 v12, 0, v12
	v_max_f32_e32 v13, 0, v13
	s_and_b32 s3, s1, vcc_lo
	v_lshl_add_u32 v36, v7, 1, v43
	v_pack_b32_f16 v11, v11, v40
	v_cvt_f16_f32_e32 v37, v57
	v_cvt_f16_f32_e32 v40, v68
	v_cvt_f32_f16_sdwa v43, v80 dst_sel:DWORD dst_unused:UNUSED_PAD src0_sel:WORD_1
	v_add_nc_u32_e32 v7, s8, v7
	v_cvt_f16_f32_e32 v41, v12
	v_cvt_f16_f32_e32 v13, v13
	v_cndmask_b32_e64 v42, 0x80000000, 0, s3
	v_pack_b32_f16 v12, v37, v40
	v_cvt_f32_f16_e32 v37, v80
	v_add_f32_e32 v38, v38, v43
	v_pack_b32_f16 v13, v13, v41
	v_lshl_add_u32 v7, v7, 1, v42
	buffer_store_dwordx2 v[8:9], v14, s[16:19], 0 offen
	v_add_f32_e32 v8, v35, v37
	buffer_store_dwordx2 v[10:11], v36, s[16:19], 0 offen
	buffer_store_dwordx2 v[12:13], v7, s[16:19], 0 offen
	v_max_f32_e32 v7, 0, v38
	v_cvt_f16_f32_e32 v9, v84
	v_max_f32_e32 v8, 0, v8
	v_cvt_f16_f32_e32 v10, v52
	v_cvt_f32_f16_e32 v12, v85
	v_cvt_f16_f32_e32 v11, v7
	v_cvt_f32_f16_sdwa v7, v85 dst_sel:DWORD dst_unused:UNUSED_PAD src0_sel:WORD_1
	v_max_f32_e32 v58, 0, v58
	v_add_nc_u32_e32 v13, s8, v15
	v_cvt_f16_f32_e32 v8, v8
	s_and_b32 s1, s1, s0
	v_add_f32_e32 v15, v34, v7
	v_pack_b32_f16 v7, v9, v10
	v_add_f32_e32 v9, v32, v12
	v_pack_b32_f16 v8, v8, v11
	v_cvt_f16_f32_e32 v11, v63
	v_cvt_f16_f32_e32 v12, v58
	v_cvt_f32_f16_sdwa v32, v56 dst_sel:DWORD dst_unused:UNUSED_PAD src0_sel:WORD_1
	v_max_f32_e32 v9, 0, v9
	v_cvt_f32_f16_e32 v34, v56
	v_cndmask_b32_e64 v14, 0x80000000, 0, s1
	v_max_f32_e32 v10, 0, v15
	v_cmp_gt_i32_e64 s1, s10, v81
	v_cvt_f16_f32_e32 v35, v9
	v_pack_b32_f16 v9, v11, v12
	v_add_f32_e32 v11, v28, v32
	v_add_f32_e32 v12, v27, v34
	v_lshl_add_u32 v14, v13, 1, v14
	v_add_nc_u32_e32 v15, s8, v13
	v_cvt_f16_f32_e32 v10, v10
	v_max_f32_e32 v11, 0, v11
	v_max_f32_e32 v12, 0, v12
	v_cvt_f16_f32_e32 v32, v53
	v_cvt_f16_f32_e32 v34, v64
	s_and_b32 s3, s1, s0
	s_and_b32 s1, s1, vcc_lo
	v_pack_b32_f16 v10, v35, v10
	v_cndmask_b32_e64 v27, 0x80000000, 0, s3
	v_subrev_nc_u32_e32 v28, s2, v15
	v_cvt_f16_f32_e32 v35, v11
	v_cvt_f16_f32_e32 v12, v12
	v_cndmask_b32_e64 v36, 0x80000000, 0, s1
	v_pack_b32_f16 v11, v32, v34
	v_cvt_f32_f16_sdwa v32, v67 dst_sel:DWORD dst_unused:UNUSED_PAD src0_sel:WORD_1
	buffer_store_dwordx2 v[7:8], v14, s[16:19], 0 offen
	v_cvt_f32_f16_e32 v7, v67
	v_cvt_f32_f16_sdwa v46, v79 dst_sel:DWORD dst_unused:UNUSED_PAD src0_sel:WORD_1
	v_lshl_add_u32 v27, v15, 1, v27
	v_pack_b32_f16 v12, v12, v35
	v_lshl_add_u32 v34, v28, 1, v36
	v_add_f32_e32 v8, v30, v32
	v_add_f32_e32 v7, v29, v7
	v_cmp_gt_i32_e64 s1, s10, v86
	v_add_f32_e32 v46, v75, v46
	buffer_store_dwordx2 v[9:10], v27, s[16:19], 0 offen
	buffer_store_dwordx2 v[11:12], v34, s[16:19], 0 offen
	v_max_f32_e32 v8, 0, v8
	v_max_f32_e32 v7, 0, v7
	v_cvt_f32_f16_sdwa v12, v78 dst_sel:DWORD dst_unused:UNUSED_PAD src0_sel:WORD_1
	v_cvt_f32_f16_e32 v14, v78
	s_lshl_b32 s3, s8, 6
	s_and_b32 s4, s1, vcc_lo
	v_max_f32_e32 v46, 0, v46
	v_add_nc_u32_e32 v9, s3, v28
	v_cvt_f16_f32_e32 v10, v90
	v_cvt_f16_f32_e32 v11, v48
	;; [unrolled: 1-line block ×4, first 2 shown]
	v_cndmask_b32_e64 v28, 0x80000000, 0, s4
	v_add_f32_e32 v12, v24, v12
	v_add_f32_e32 v14, v39, v14
	v_pack_b32_f16 v7, v10, v11
	v_pack_b32_f16 v8, v27, v8
	v_lshl_add_u32 v24, v9, 1, v28
	v_max_f32_e32 v9, 0, v12
	v_max_f32_e32 v10, 0, v14
	v_cvt_f16_f32_e32 v12, v49
	v_cvt_f16_f32_e32 v14, v46
	v_cvt_f32_f16_sdwa v27, v88 dst_sel:DWORD dst_unused:UNUSED_PAD src0_sel:WORD_1
	v_cvt_f32_f16_e32 v28, v88
	s_and_b32 s1, s1, s0
	v_max_f32_e32 v51, 0, v51
	v_add_nc_u32_e32 v11, s3, v15
	v_cvt_f16_f32_e32 v15, v9
	v_cvt_f16_f32_e32 v10, v10
	v_cndmask_b32_e64 v29, 0x80000000, 0, s1
	v_pack_b32_f16 v9, v12, v14
	v_add_f32_e32 v12, v33, v27
	v_add_f32_e32 v14, v31, v28
	v_cmp_ge_i32_e64 s1, s10, v86
	v_pack_b32_f16 v10, v10, v15
	v_lshl_add_u32 v15, v11, 1, v29
	v_max_f32_e32 v11, 0, v12
	v_max_f32_e32 v12, 0, v14
	v_cvt_f16_f32_e32 v14, v93
	v_cvt_f16_f32_e32 v27, v51
	s_and_b32 s1, s1, s0
	v_cvt_f16_f32_e32 v28, v11
	v_add_nc_u32_e32 v13, s3, v13
	v_cvt_f16_f32_e32 v12, v12
	v_pack_b32_f16 v11, v14, v27
	v_cvt_f32_f16_sdwa v14, v71 dst_sel:DWORD dst_unused:UNUSED_PAD src0_sel:WORD_1
	v_cndmask_b32_e64 v29, 0x80000000, 0, s1
	v_max_f32_e32 v50, 0, v50
	buffer_store_dwordx2 v[7:8], v24, s[16:19], 0 offen
	v_pack_b32_f16 v12, v12, v28
	v_add_f32_e32 v7, v26, v14
	v_lshl_add_u32 v28, v13, 1, v29
	v_cmp_gt_i32_e64 s1, s10, v70
	buffer_store_dwordx2 v[9:10], v15, s[16:19], 0 offen
	buffer_store_dwordx2 v[11:12], v28, s[16:19], 0 offen
	v_subrev_nc_u32_e32 v9, s2, v13
	v_max_f32_e32 v7, 0, v7
	v_cvt_f16_f32_e32 v10, v92
	v_cvt_f16_f32_e32 v11, v50
	v_cvt_f32_f16_e32 v13, v59
	v_cvt_f32_f16_sdwa v14, v59 dst_sel:DWORD dst_unused:UNUSED_PAD src0_sel:WORD_1
	s_and_b32 s1, s1, vcc_lo
	v_cvt_f32_f16_e32 v27, v71
	v_cvt_f16_f32_e32 v12, v7
	v_cndmask_b32_e64 v15, 0x80000000, 0, s1
	v_pack_b32_f16 v7, v10, v11
	v_add_f32_e32 v10, v21, v14
	v_add_f32_e32 v11, v20, v13
	;; [unrolled: 1-line block ×3, first 2 shown]
	v_lshl_add_u32 v13, v9, 1, v15
	v_cvt_f32_f16_e32 v14, v74
	v_max_f32_e32 v10, 0, v10
	v_max_f32_e32 v11, 0, v11
	v_cvt_f32_f16_sdwa v15, v74 dst_sel:DWORD dst_unused:UNUSED_PAD src0_sel:WORD_1
	v_max_f32_e32 v8, 0, v8
	v_add_f32_e32 v14, v22, v14
	v_cvt_f16_f32_e32 v10, v10
	v_cvt_f16_f32_e32 v11, v11
	v_add_f32_e32 v15, v23, v15
	v_cmp_ge_i32_e64 s1, s10, v70
	v_max_f32_e32 v54, 0, v54
	v_cvt_f16_f32_e32 v8, v8
	v_pack_b32_f16 v10, v11, v10
	v_max_f32_e32 v11, 0, v14
	v_max_f32_e32 v14, 0, v15
	s_and_b32 s1, s1, vcc_lo
	v_max_f32_e32 v55, 0, v55
	v_pack_b32_f16 v8, v8, v12
	v_subrev_nc_u32_e32 v12, s8, v9
	v_cvt_f16_f32_e32 v9, v87
	v_cvt_f16_f32_e32 v20, v54
	v_cndmask_b32_e64 v15, 0x80000000, 0, s1
	v_cvt_f16_f32_e32 v14, v14
	v_cvt_f16_f32_e32 v22, v11
	v_max_f32_e32 v6, 0, v6
	v_pack_b32_f16 v9, v9, v20
	v_cvt_f16_f32_e32 v20, v55
	v_cvt_f16_f32_e32 v21, v91
	v_lshl_add_u32 v15, v12, 1, v15
	v_add_nc_u32_e32 v23, s2, v12
	v_pack_b32_f16 v12, v22, v14
	v_cvt_f32_f16_e32 v14, v5
	v_cvt_f32_f16_sdwa v5, v5 dst_sel:DWORD dst_unused:UNUSED_PAD src0_sel:WORD_1
	v_cmp_gt_i32_e64 s1, s10, v4
	v_pack_b32_f16 v11, v20, v21
	v_cvt_f16_f32_e32 v6, v6
	v_cvt_f16_f32_e32 v21, v89
	v_add_f32_e32 v19, v19, v5
	v_add_f32_e32 v14, v18, v14
	s_and_b32 s1, s1, s0
	v_max_f32_e32 v1, 0, v1
	v_pack_b32_f16 v5, v6, v21
	v_max_f32_e32 v6, 0, v19
	v_max_f32_e32 v14, 0, v14
	v_cvt_f32_f16_sdwa v19, v3 dst_sel:DWORD dst_unused:UNUSED_PAD src0_sel:WORD_1
	v_cvt_f32_f16_e32 v3, v3
	v_cndmask_b32_e64 v20, 0x80000000, 0, s1
	v_cmp_ge_i32_e64 s1, s10, v4
	v_cvt_f16_f32_e32 v4, v6
	v_cvt_f16_f32_e32 v6, v14
	v_add_f32_e32 v14, v17, v19
	v_add_f32_e32 v3, v16, v3
	s_and_b32 s0, s1, s0
	v_max_f32_e32 v2, 0, v2
	v_cndmask_b32_e64 v16, 0x80000000, 0, s0
	v_cmp_gt_i32_e64 s0, s10, v0
	v_lshl_add_u32 v18, v23, 1, v20
	v_subrev_nc_u32_e32 v20, s8, v23
	v_max_f32_e32 v14, 0, v14
	v_max_f32_e32 v3, 0, v3
	s_and_b32 s0, s0, vcc_lo
	v_cvt_f16_f32_e32 v0, v1
	v_subrev_nc_u32_e32 v17, s2, v20
	v_cvt_f16_f32_e32 v1, v2
	v_cvt_f16_f32_e32 v2, v14
	v_cvt_f16_f32_e32 v3, v3
	v_cndmask_b32_e64 v14, 0x80000000, 0, s0
	v_pack_b32_f16 v6, v6, v4
	v_lshl_add_u32 v4, v20, 1, v16
	v_pack_b32_f16 v0, v0, v1
	v_pack_b32_f16 v1, v3, v2
	v_lshl_add_u32 v2, v17, 1, v14
	buffer_store_dwordx2 v[7:8], v13, s[16:19], 0 offen
	buffer_store_dwordx2 v[9:10], v15, s[16:19], 0 offen
	;; [unrolled: 1-line block ×5, first 2 shown]
	s_endpgm
	.section	.rodata,"a",@progbits
	.p2align	6, 0x0
	.amdhsa_kernel _ZN2ck16tensor_operation6device12_GLOBAL__N_137kernel_grouped_conv_fwd_dl_multiple_dINS_32GridwiseGemmDlMultipleD_km_kn_mnILi256EDF16_fNS_5TupleIJDF16_EEEDF16_NS0_12element_wise11PassThroughES8_NS7_7AddReluELNS_25InMemoryDataOperationEnumE0ENS_16TensorDescriptorINS5_IJNS_5EmbedINS5_IJiiiEEESD_Lb0EEENS_11PassThroughIiEENS_3PadIiiiLb0EEESG_SG_NSC_INS5_IJiiEEESJ_Lb0EEESG_NS_23Merge_v2_magic_divisionISJ_EESM_NS_8RightPadIiiLb0EEESO_NS_7UnMergeISJ_Lb0EEESG_EEENS5_IJNS_8SequenceIJLi0EEEENSS_IJLi1EEEENSS_IJLi2EEEENSS_IJLi3EEEENSS_IJLi4EEEENSS_IJLi5EEEENSS_IJLi6EEEENSS_IJLi7ELi9EEEENSS_IJLi8ELi10EEEENSS_IJLi11EEEENSS_IJLi12EEEENSS_IJLi14EEEENSS_IJLi13EEEEEEENS5_IJNSS_IJLi1ELi2ELi3EEEESX_SY_SZ_NSS_IJLi7EEEENSS_IJLi8ELi9EEEENSS_IJLi10EEEES12_S13_S15_S14_NSS_IJLi15ELi16EEEENSS_IJLi17EEEEEEENSS_IJLi15ELi17ELi16EEEElEENSB_INS5_IJSQ_SO_SO_SQ_SG_EEENS5_IJST_SU_SV_SX_SW_EEENS5_IJNSS_IJLi1ELi2EEEESW_SX_NSS_IJLi5ELi6EEEES18_EEENSS_IJLi5ELi7ELi6EEEElEENSB_INS5_IJSK_SO_SO_EEENS5_IJST_SU_SV_EEENS5_IJS1I_SW_SX_EEENSS_IJLi3ELi4EEEElEELi128ELi128ELi16ELi2ELi4ELi4ELi1ENSS_IJLi8ELi2EEEES1S_NSS_IJLi8ELi1ELi1ELi2EEEENSS_IJLi2ELi1ELi128ELi1EEEENSS_IJLi1ELi2ELi0ELi3EEEES1V_NSS_IJLi4ELi1ELi1ELi2EEEES1V_NSS_IJLi1ELi1ELi1ELi2EEEES1T_S1U_S1V_S1V_S1W_S1V_S1X_NSS_IJLi0ELi1ELi2ELi3ELi4ELi5EEEELi5ELi4EEEDF16_NS5_IJPKDF16_EEEDF16_S8_S8_S9_NSB_INS5_IJSE_SG_SI_SG_SG_SK_SG_SM_SM_SO_SO_SQ_SG_SG_NSP_INS5_IJiNS_17integral_constantIiLi128EEEEEELb0EEENSF_INS23_IiLi2EEEEEEEENS5_IJST_SU_SV_SW_SX_SY_SZ_S10_S11_S12_S13_S14_S15_NSS_IJLi15EEEES1C_NSS_IJLi16EEEEEEENS5_IJS17_SX_SY_SZ_S18_S19_S1A_S12_S13_S15_S14_S1B_S1C_NSS_IJLi18EEEENSS_IJLi19ELi20EEEENSS_IJLi21EEEEEEENSS_IJLi18ELi19ELi20ELi21EEEElEENSB_INS5_IJSQ_SO_SO_SQ_SG_SG_S26_S28_EEENS5_IJST_SU_SV_SX_SW_SY_S18_SZ_EEENS5_IJS1I_SW_SX_S1J_S18_NSS_IJLi8EEEENSS_IJLi9ELi10EEEES12_EEENSS_IJLi8ELi9ELi10ELi11EEEElEENS5_IJNSB_INS5_IJSK_SO_SO_NSP_INS5_IJiS27_NS23_IiLi64EEEEEELb0EEES2S_EEENS5_IJST_SU_SV_SW_SX_EEENS5_IJS1I_SW_SX_NSS_IJLi5ELi6ELi7EEEENSS_IJLi8ELi9ELi10EEEEEEENSS_IJLi5ELi6ELi7ELi8ELi9ELi10EEEElEEEEES2Z_NS_31BlockToCTileMap_M00_N00_M01_N01ILi128ELi128ES1R_Lb0EEENS1_30ComputePtrOffsetOfStridedBatchILi1ELi1ELi1EvEELb0ELb0EEEvPKT0_S37_T1_PT2_T3_T4_T5_iT6_T7_T8_T9_T10_T11_
		.amdhsa_group_segment_fixed_size 32768
		.amdhsa_private_segment_fixed_size 0
		.amdhsa_kernarg_size 904
		.amdhsa_user_sgpr_count 6
		.amdhsa_user_sgpr_private_segment_buffer 1
		.amdhsa_user_sgpr_dispatch_ptr 0
		.amdhsa_user_sgpr_queue_ptr 0
		.amdhsa_user_sgpr_kernarg_segment_ptr 1
		.amdhsa_user_sgpr_dispatch_id 0
		.amdhsa_user_sgpr_flat_scratch_init 0
		.amdhsa_user_sgpr_private_segment_size 0
		.amdhsa_wavefront_size32 1
		.amdhsa_uses_dynamic_stack 0
		.amdhsa_system_sgpr_private_segment_wavefront_offset 0
		.amdhsa_system_sgpr_workgroup_id_x 1
		.amdhsa_system_sgpr_workgroup_id_y 0
		.amdhsa_system_sgpr_workgroup_id_z 0
		.amdhsa_system_sgpr_workgroup_info 0
		.amdhsa_system_vgpr_workitem_id 0
		.amdhsa_next_free_vgpr 124
		.amdhsa_next_free_sgpr 44
		.amdhsa_reserve_vcc 1
		.amdhsa_reserve_flat_scratch 0
		.amdhsa_float_round_mode_32 0
		.amdhsa_float_round_mode_16_64 0
		.amdhsa_float_denorm_mode_32 3
		.amdhsa_float_denorm_mode_16_64 3
		.amdhsa_dx10_clamp 1
		.amdhsa_ieee_mode 1
		.amdhsa_fp16_overflow 0
		.amdhsa_workgroup_processor_mode 1
		.amdhsa_memory_ordered 1
		.amdhsa_forward_progress 1
		.amdhsa_shared_vgpr_count 0
		.amdhsa_exception_fp_ieee_invalid_op 0
		.amdhsa_exception_fp_denorm_src 0
		.amdhsa_exception_fp_ieee_div_zero 0
		.amdhsa_exception_fp_ieee_overflow 0
		.amdhsa_exception_fp_ieee_underflow 0
		.amdhsa_exception_fp_ieee_inexact 0
		.amdhsa_exception_int_div_zero 0
	.end_amdhsa_kernel
	.section	.text._ZN2ck16tensor_operation6device12_GLOBAL__N_137kernel_grouped_conv_fwd_dl_multiple_dINS_32GridwiseGemmDlMultipleD_km_kn_mnILi256EDF16_fNS_5TupleIJDF16_EEEDF16_NS0_12element_wise11PassThroughES8_NS7_7AddReluELNS_25InMemoryDataOperationEnumE0ENS_16TensorDescriptorINS5_IJNS_5EmbedINS5_IJiiiEEESD_Lb0EEENS_11PassThroughIiEENS_3PadIiiiLb0EEESG_SG_NSC_INS5_IJiiEEESJ_Lb0EEESG_NS_23Merge_v2_magic_divisionISJ_EESM_NS_8RightPadIiiLb0EEESO_NS_7UnMergeISJ_Lb0EEESG_EEENS5_IJNS_8SequenceIJLi0EEEENSS_IJLi1EEEENSS_IJLi2EEEENSS_IJLi3EEEENSS_IJLi4EEEENSS_IJLi5EEEENSS_IJLi6EEEENSS_IJLi7ELi9EEEENSS_IJLi8ELi10EEEENSS_IJLi11EEEENSS_IJLi12EEEENSS_IJLi14EEEENSS_IJLi13EEEEEEENS5_IJNSS_IJLi1ELi2ELi3EEEESX_SY_SZ_NSS_IJLi7EEEENSS_IJLi8ELi9EEEENSS_IJLi10EEEES12_S13_S15_S14_NSS_IJLi15ELi16EEEENSS_IJLi17EEEEEEENSS_IJLi15ELi17ELi16EEEElEENSB_INS5_IJSQ_SO_SO_SQ_SG_EEENS5_IJST_SU_SV_SX_SW_EEENS5_IJNSS_IJLi1ELi2EEEESW_SX_NSS_IJLi5ELi6EEEES18_EEENSS_IJLi5ELi7ELi6EEEElEENSB_INS5_IJSK_SO_SO_EEENS5_IJST_SU_SV_EEENS5_IJS1I_SW_SX_EEENSS_IJLi3ELi4EEEElEELi128ELi128ELi16ELi2ELi4ELi4ELi1ENSS_IJLi8ELi2EEEES1S_NSS_IJLi8ELi1ELi1ELi2EEEENSS_IJLi2ELi1ELi128ELi1EEEENSS_IJLi1ELi2ELi0ELi3EEEES1V_NSS_IJLi4ELi1ELi1ELi2EEEES1V_NSS_IJLi1ELi1ELi1ELi2EEEES1T_S1U_S1V_S1V_S1W_S1V_S1X_NSS_IJLi0ELi1ELi2ELi3ELi4ELi5EEEELi5ELi4EEEDF16_NS5_IJPKDF16_EEEDF16_S8_S8_S9_NSB_INS5_IJSE_SG_SI_SG_SG_SK_SG_SM_SM_SO_SO_SQ_SG_SG_NSP_INS5_IJiNS_17integral_constantIiLi128EEEEEELb0EEENSF_INS23_IiLi2EEEEEEEENS5_IJST_SU_SV_SW_SX_SY_SZ_S10_S11_S12_S13_S14_S15_NSS_IJLi15EEEES1C_NSS_IJLi16EEEEEEENS5_IJS17_SX_SY_SZ_S18_S19_S1A_S12_S13_S15_S14_S1B_S1C_NSS_IJLi18EEEENSS_IJLi19ELi20EEEENSS_IJLi21EEEEEEENSS_IJLi18ELi19ELi20ELi21EEEElEENSB_INS5_IJSQ_SO_SO_SQ_SG_SG_S26_S28_EEENS5_IJST_SU_SV_SX_SW_SY_S18_SZ_EEENS5_IJS1I_SW_SX_S1J_S18_NSS_IJLi8EEEENSS_IJLi9ELi10EEEES12_EEENSS_IJLi8ELi9ELi10ELi11EEEElEENS5_IJNSB_INS5_IJSK_SO_SO_NSP_INS5_IJiS27_NS23_IiLi64EEEEEELb0EEES2S_EEENS5_IJST_SU_SV_SW_SX_EEENS5_IJS1I_SW_SX_NSS_IJLi5ELi6ELi7EEEENSS_IJLi8ELi9ELi10EEEEEEENSS_IJLi5ELi6ELi7ELi8ELi9ELi10EEEElEEEEES2Z_NS_31BlockToCTileMap_M00_N00_M01_N01ILi128ELi128ES1R_Lb0EEENS1_30ComputePtrOffsetOfStridedBatchILi1ELi1ELi1EvEELb0ELb0EEEvPKT0_S37_T1_PT2_T3_T4_T5_iT6_T7_T8_T9_T10_T11_,"axG",@progbits,_ZN2ck16tensor_operation6device12_GLOBAL__N_137kernel_grouped_conv_fwd_dl_multiple_dINS_32GridwiseGemmDlMultipleD_km_kn_mnILi256EDF16_fNS_5TupleIJDF16_EEEDF16_NS0_12element_wise11PassThroughES8_NS7_7AddReluELNS_25InMemoryDataOperationEnumE0ENS_16TensorDescriptorINS5_IJNS_5EmbedINS5_IJiiiEEESD_Lb0EEENS_11PassThroughIiEENS_3PadIiiiLb0EEESG_SG_NSC_INS5_IJiiEEESJ_Lb0EEESG_NS_23Merge_v2_magic_divisionISJ_EESM_NS_8RightPadIiiLb0EEESO_NS_7UnMergeISJ_Lb0EEESG_EEENS5_IJNS_8SequenceIJLi0EEEENSS_IJLi1EEEENSS_IJLi2EEEENSS_IJLi3EEEENSS_IJLi4EEEENSS_IJLi5EEEENSS_IJLi6EEEENSS_IJLi7ELi9EEEENSS_IJLi8ELi10EEEENSS_IJLi11EEEENSS_IJLi12EEEENSS_IJLi14EEEENSS_IJLi13EEEEEEENS5_IJNSS_IJLi1ELi2ELi3EEEESX_SY_SZ_NSS_IJLi7EEEENSS_IJLi8ELi9EEEENSS_IJLi10EEEES12_S13_S15_S14_NSS_IJLi15ELi16EEEENSS_IJLi17EEEEEEENSS_IJLi15ELi17ELi16EEEElEENSB_INS5_IJSQ_SO_SO_SQ_SG_EEENS5_IJST_SU_SV_SX_SW_EEENS5_IJNSS_IJLi1ELi2EEEESW_SX_NSS_IJLi5ELi6EEEES18_EEENSS_IJLi5ELi7ELi6EEEElEENSB_INS5_IJSK_SO_SO_EEENS5_IJST_SU_SV_EEENS5_IJS1I_SW_SX_EEENSS_IJLi3ELi4EEEElEELi128ELi128ELi16ELi2ELi4ELi4ELi1ENSS_IJLi8ELi2EEEES1S_NSS_IJLi8ELi1ELi1ELi2EEEENSS_IJLi2ELi1ELi128ELi1EEEENSS_IJLi1ELi2ELi0ELi3EEEES1V_NSS_IJLi4ELi1ELi1ELi2EEEES1V_NSS_IJLi1ELi1ELi1ELi2EEEES1T_S1U_S1V_S1V_S1W_S1V_S1X_NSS_IJLi0ELi1ELi2ELi3ELi4ELi5EEEELi5ELi4EEEDF16_NS5_IJPKDF16_EEEDF16_S8_S8_S9_NSB_INS5_IJSE_SG_SI_SG_SG_SK_SG_SM_SM_SO_SO_SQ_SG_SG_NSP_INS5_IJiNS_17integral_constantIiLi128EEEEEELb0EEENSF_INS23_IiLi2EEEEEEEENS5_IJST_SU_SV_SW_SX_SY_SZ_S10_S11_S12_S13_S14_S15_NSS_IJLi15EEEES1C_NSS_IJLi16EEEEEEENS5_IJS17_SX_SY_SZ_S18_S19_S1A_S12_S13_S15_S14_S1B_S1C_NSS_IJLi18EEEENSS_IJLi19ELi20EEEENSS_IJLi21EEEEEEENSS_IJLi18ELi19ELi20ELi21EEEElEENSB_INS5_IJSQ_SO_SO_SQ_SG_SG_S26_S28_EEENS5_IJST_SU_SV_SX_SW_SY_S18_SZ_EEENS5_IJS1I_SW_SX_S1J_S18_NSS_IJLi8EEEENSS_IJLi9ELi10EEEES12_EEENSS_IJLi8ELi9ELi10ELi11EEEElEENS5_IJNSB_INS5_IJSK_SO_SO_NSP_INS5_IJiS27_NS23_IiLi64EEEEEELb0EEES2S_EEENS5_IJST_SU_SV_SW_SX_EEENS5_IJS1I_SW_SX_NSS_IJLi5ELi6ELi7EEEENSS_IJLi8ELi9ELi10EEEEEEENSS_IJLi5ELi6ELi7ELi8ELi9ELi10EEEElEEEEES2Z_NS_31BlockToCTileMap_M00_N00_M01_N01ILi128ELi128ES1R_Lb0EEENS1_30ComputePtrOffsetOfStridedBatchILi1ELi1ELi1EvEELb0ELb0EEEvPKT0_S37_T1_PT2_T3_T4_T5_iT6_T7_T8_T9_T10_T11_,comdat
.Lfunc_end4:
	.size	_ZN2ck16tensor_operation6device12_GLOBAL__N_137kernel_grouped_conv_fwd_dl_multiple_dINS_32GridwiseGemmDlMultipleD_km_kn_mnILi256EDF16_fNS_5TupleIJDF16_EEEDF16_NS0_12element_wise11PassThroughES8_NS7_7AddReluELNS_25InMemoryDataOperationEnumE0ENS_16TensorDescriptorINS5_IJNS_5EmbedINS5_IJiiiEEESD_Lb0EEENS_11PassThroughIiEENS_3PadIiiiLb0EEESG_SG_NSC_INS5_IJiiEEESJ_Lb0EEESG_NS_23Merge_v2_magic_divisionISJ_EESM_NS_8RightPadIiiLb0EEESO_NS_7UnMergeISJ_Lb0EEESG_EEENS5_IJNS_8SequenceIJLi0EEEENSS_IJLi1EEEENSS_IJLi2EEEENSS_IJLi3EEEENSS_IJLi4EEEENSS_IJLi5EEEENSS_IJLi6EEEENSS_IJLi7ELi9EEEENSS_IJLi8ELi10EEEENSS_IJLi11EEEENSS_IJLi12EEEENSS_IJLi14EEEENSS_IJLi13EEEEEEENS5_IJNSS_IJLi1ELi2ELi3EEEESX_SY_SZ_NSS_IJLi7EEEENSS_IJLi8ELi9EEEENSS_IJLi10EEEES12_S13_S15_S14_NSS_IJLi15ELi16EEEENSS_IJLi17EEEEEEENSS_IJLi15ELi17ELi16EEEElEENSB_INS5_IJSQ_SO_SO_SQ_SG_EEENS5_IJST_SU_SV_SX_SW_EEENS5_IJNSS_IJLi1ELi2EEEESW_SX_NSS_IJLi5ELi6EEEES18_EEENSS_IJLi5ELi7ELi6EEEElEENSB_INS5_IJSK_SO_SO_EEENS5_IJST_SU_SV_EEENS5_IJS1I_SW_SX_EEENSS_IJLi3ELi4EEEElEELi128ELi128ELi16ELi2ELi4ELi4ELi1ENSS_IJLi8ELi2EEEES1S_NSS_IJLi8ELi1ELi1ELi2EEEENSS_IJLi2ELi1ELi128ELi1EEEENSS_IJLi1ELi2ELi0ELi3EEEES1V_NSS_IJLi4ELi1ELi1ELi2EEEES1V_NSS_IJLi1ELi1ELi1ELi2EEEES1T_S1U_S1V_S1V_S1W_S1V_S1X_NSS_IJLi0ELi1ELi2ELi3ELi4ELi5EEEELi5ELi4EEEDF16_NS5_IJPKDF16_EEEDF16_S8_S8_S9_NSB_INS5_IJSE_SG_SI_SG_SG_SK_SG_SM_SM_SO_SO_SQ_SG_SG_NSP_INS5_IJiNS_17integral_constantIiLi128EEEEEELb0EEENSF_INS23_IiLi2EEEEEEEENS5_IJST_SU_SV_SW_SX_SY_SZ_S10_S11_S12_S13_S14_S15_NSS_IJLi15EEEES1C_NSS_IJLi16EEEEEEENS5_IJS17_SX_SY_SZ_S18_S19_S1A_S12_S13_S15_S14_S1B_S1C_NSS_IJLi18EEEENSS_IJLi19ELi20EEEENSS_IJLi21EEEEEEENSS_IJLi18ELi19ELi20ELi21EEEElEENSB_INS5_IJSQ_SO_SO_SQ_SG_SG_S26_S28_EEENS5_IJST_SU_SV_SX_SW_SY_S18_SZ_EEENS5_IJS1I_SW_SX_S1J_S18_NSS_IJLi8EEEENSS_IJLi9ELi10EEEES12_EEENSS_IJLi8ELi9ELi10ELi11EEEElEENS5_IJNSB_INS5_IJSK_SO_SO_NSP_INS5_IJiS27_NS23_IiLi64EEEEEELb0EEES2S_EEENS5_IJST_SU_SV_SW_SX_EEENS5_IJS1I_SW_SX_NSS_IJLi5ELi6ELi7EEEENSS_IJLi8ELi9ELi10EEEEEEENSS_IJLi5ELi6ELi7ELi8ELi9ELi10EEEElEEEEES2Z_NS_31BlockToCTileMap_M00_N00_M01_N01ILi128ELi128ES1R_Lb0EEENS1_30ComputePtrOffsetOfStridedBatchILi1ELi1ELi1EvEELb0ELb0EEEvPKT0_S37_T1_PT2_T3_T4_T5_iT6_T7_T8_T9_T10_T11_, .Lfunc_end4-_ZN2ck16tensor_operation6device12_GLOBAL__N_137kernel_grouped_conv_fwd_dl_multiple_dINS_32GridwiseGemmDlMultipleD_km_kn_mnILi256EDF16_fNS_5TupleIJDF16_EEEDF16_NS0_12element_wise11PassThroughES8_NS7_7AddReluELNS_25InMemoryDataOperationEnumE0ENS_16TensorDescriptorINS5_IJNS_5EmbedINS5_IJiiiEEESD_Lb0EEENS_11PassThroughIiEENS_3PadIiiiLb0EEESG_SG_NSC_INS5_IJiiEEESJ_Lb0EEESG_NS_23Merge_v2_magic_divisionISJ_EESM_NS_8RightPadIiiLb0EEESO_NS_7UnMergeISJ_Lb0EEESG_EEENS5_IJNS_8SequenceIJLi0EEEENSS_IJLi1EEEENSS_IJLi2EEEENSS_IJLi3EEEENSS_IJLi4EEEENSS_IJLi5EEEENSS_IJLi6EEEENSS_IJLi7ELi9EEEENSS_IJLi8ELi10EEEENSS_IJLi11EEEENSS_IJLi12EEEENSS_IJLi14EEEENSS_IJLi13EEEEEEENS5_IJNSS_IJLi1ELi2ELi3EEEESX_SY_SZ_NSS_IJLi7EEEENSS_IJLi8ELi9EEEENSS_IJLi10EEEES12_S13_S15_S14_NSS_IJLi15ELi16EEEENSS_IJLi17EEEEEEENSS_IJLi15ELi17ELi16EEEElEENSB_INS5_IJSQ_SO_SO_SQ_SG_EEENS5_IJST_SU_SV_SX_SW_EEENS5_IJNSS_IJLi1ELi2EEEESW_SX_NSS_IJLi5ELi6EEEES18_EEENSS_IJLi5ELi7ELi6EEEElEENSB_INS5_IJSK_SO_SO_EEENS5_IJST_SU_SV_EEENS5_IJS1I_SW_SX_EEENSS_IJLi3ELi4EEEElEELi128ELi128ELi16ELi2ELi4ELi4ELi1ENSS_IJLi8ELi2EEEES1S_NSS_IJLi8ELi1ELi1ELi2EEEENSS_IJLi2ELi1ELi128ELi1EEEENSS_IJLi1ELi2ELi0ELi3EEEES1V_NSS_IJLi4ELi1ELi1ELi2EEEES1V_NSS_IJLi1ELi1ELi1ELi2EEEES1T_S1U_S1V_S1V_S1W_S1V_S1X_NSS_IJLi0ELi1ELi2ELi3ELi4ELi5EEEELi5ELi4EEEDF16_NS5_IJPKDF16_EEEDF16_S8_S8_S9_NSB_INS5_IJSE_SG_SI_SG_SG_SK_SG_SM_SM_SO_SO_SQ_SG_SG_NSP_INS5_IJiNS_17integral_constantIiLi128EEEEEELb0EEENSF_INS23_IiLi2EEEEEEEENS5_IJST_SU_SV_SW_SX_SY_SZ_S10_S11_S12_S13_S14_S15_NSS_IJLi15EEEES1C_NSS_IJLi16EEEEEEENS5_IJS17_SX_SY_SZ_S18_S19_S1A_S12_S13_S15_S14_S1B_S1C_NSS_IJLi18EEEENSS_IJLi19ELi20EEEENSS_IJLi21EEEEEEENSS_IJLi18ELi19ELi20ELi21EEEElEENSB_INS5_IJSQ_SO_SO_SQ_SG_SG_S26_S28_EEENS5_IJST_SU_SV_SX_SW_SY_S18_SZ_EEENS5_IJS1I_SW_SX_S1J_S18_NSS_IJLi8EEEENSS_IJLi9ELi10EEEES12_EEENSS_IJLi8ELi9ELi10ELi11EEEElEENS5_IJNSB_INS5_IJSK_SO_SO_NSP_INS5_IJiS27_NS23_IiLi64EEEEEELb0EEES2S_EEENS5_IJST_SU_SV_SW_SX_EEENS5_IJS1I_SW_SX_NSS_IJLi5ELi6ELi7EEEENSS_IJLi8ELi9ELi10EEEEEEENSS_IJLi5ELi6ELi7ELi8ELi9ELi10EEEElEEEEES2Z_NS_31BlockToCTileMap_M00_N00_M01_N01ILi128ELi128ES1R_Lb0EEENS1_30ComputePtrOffsetOfStridedBatchILi1ELi1ELi1EvEELb0ELb0EEEvPKT0_S37_T1_PT2_T3_T4_T5_iT6_T7_T8_T9_T10_T11_
                                        ; -- End function
	.set _ZN2ck16tensor_operation6device12_GLOBAL__N_137kernel_grouped_conv_fwd_dl_multiple_dINS_32GridwiseGemmDlMultipleD_km_kn_mnILi256EDF16_fNS_5TupleIJDF16_EEEDF16_NS0_12element_wise11PassThroughES8_NS7_7AddReluELNS_25InMemoryDataOperationEnumE0ENS_16TensorDescriptorINS5_IJNS_5EmbedINS5_IJiiiEEESD_Lb0EEENS_11PassThroughIiEENS_3PadIiiiLb0EEESG_SG_NSC_INS5_IJiiEEESJ_Lb0EEESG_NS_23Merge_v2_magic_divisionISJ_EESM_NS_8RightPadIiiLb0EEESO_NS_7UnMergeISJ_Lb0EEESG_EEENS5_IJNS_8SequenceIJLi0EEEENSS_IJLi1EEEENSS_IJLi2EEEENSS_IJLi3EEEENSS_IJLi4EEEENSS_IJLi5EEEENSS_IJLi6EEEENSS_IJLi7ELi9EEEENSS_IJLi8ELi10EEEENSS_IJLi11EEEENSS_IJLi12EEEENSS_IJLi14EEEENSS_IJLi13EEEEEEENS5_IJNSS_IJLi1ELi2ELi3EEEESX_SY_SZ_NSS_IJLi7EEEENSS_IJLi8ELi9EEEENSS_IJLi10EEEES12_S13_S15_S14_NSS_IJLi15ELi16EEEENSS_IJLi17EEEEEEENSS_IJLi15ELi17ELi16EEEElEENSB_INS5_IJSQ_SO_SO_SQ_SG_EEENS5_IJST_SU_SV_SX_SW_EEENS5_IJNSS_IJLi1ELi2EEEESW_SX_NSS_IJLi5ELi6EEEES18_EEENSS_IJLi5ELi7ELi6EEEElEENSB_INS5_IJSK_SO_SO_EEENS5_IJST_SU_SV_EEENS5_IJS1I_SW_SX_EEENSS_IJLi3ELi4EEEElEELi128ELi128ELi16ELi2ELi4ELi4ELi1ENSS_IJLi8ELi2EEEES1S_NSS_IJLi8ELi1ELi1ELi2EEEENSS_IJLi2ELi1ELi128ELi1EEEENSS_IJLi1ELi2ELi0ELi3EEEES1V_NSS_IJLi4ELi1ELi1ELi2EEEES1V_NSS_IJLi1ELi1ELi1ELi2EEEES1T_S1U_S1V_S1V_S1W_S1V_S1X_NSS_IJLi0ELi1ELi2ELi3ELi4ELi5EEEELi5ELi4EEEDF16_NS5_IJPKDF16_EEEDF16_S8_S8_S9_NSB_INS5_IJSE_SG_SI_SG_SG_SK_SG_SM_SM_SO_SO_SQ_SG_SG_NSP_INS5_IJiNS_17integral_constantIiLi128EEEEEELb0EEENSF_INS23_IiLi2EEEEEEEENS5_IJST_SU_SV_SW_SX_SY_SZ_S10_S11_S12_S13_S14_S15_NSS_IJLi15EEEES1C_NSS_IJLi16EEEEEEENS5_IJS17_SX_SY_SZ_S18_S19_S1A_S12_S13_S15_S14_S1B_S1C_NSS_IJLi18EEEENSS_IJLi19ELi20EEEENSS_IJLi21EEEEEEENSS_IJLi18ELi19ELi20ELi21EEEElEENSB_INS5_IJSQ_SO_SO_SQ_SG_SG_S26_S28_EEENS5_IJST_SU_SV_SX_SW_SY_S18_SZ_EEENS5_IJS1I_SW_SX_S1J_S18_NSS_IJLi8EEEENSS_IJLi9ELi10EEEES12_EEENSS_IJLi8ELi9ELi10ELi11EEEElEENS5_IJNSB_INS5_IJSK_SO_SO_NSP_INS5_IJiS27_NS23_IiLi64EEEEEELb0EEES2S_EEENS5_IJST_SU_SV_SW_SX_EEENS5_IJS1I_SW_SX_NSS_IJLi5ELi6ELi7EEEENSS_IJLi8ELi9ELi10EEEEEEENSS_IJLi5ELi6ELi7ELi8ELi9ELi10EEEElEEEEES2Z_NS_31BlockToCTileMap_M00_N00_M01_N01ILi128ELi128ES1R_Lb0EEENS1_30ComputePtrOffsetOfStridedBatchILi1ELi1ELi1EvEELb0ELb0EEEvPKT0_S37_T1_PT2_T3_T4_T5_iT6_T7_T8_T9_T10_T11_.num_vgpr, 124
	.set _ZN2ck16tensor_operation6device12_GLOBAL__N_137kernel_grouped_conv_fwd_dl_multiple_dINS_32GridwiseGemmDlMultipleD_km_kn_mnILi256EDF16_fNS_5TupleIJDF16_EEEDF16_NS0_12element_wise11PassThroughES8_NS7_7AddReluELNS_25InMemoryDataOperationEnumE0ENS_16TensorDescriptorINS5_IJNS_5EmbedINS5_IJiiiEEESD_Lb0EEENS_11PassThroughIiEENS_3PadIiiiLb0EEESG_SG_NSC_INS5_IJiiEEESJ_Lb0EEESG_NS_23Merge_v2_magic_divisionISJ_EESM_NS_8RightPadIiiLb0EEESO_NS_7UnMergeISJ_Lb0EEESG_EEENS5_IJNS_8SequenceIJLi0EEEENSS_IJLi1EEEENSS_IJLi2EEEENSS_IJLi3EEEENSS_IJLi4EEEENSS_IJLi5EEEENSS_IJLi6EEEENSS_IJLi7ELi9EEEENSS_IJLi8ELi10EEEENSS_IJLi11EEEENSS_IJLi12EEEENSS_IJLi14EEEENSS_IJLi13EEEEEEENS5_IJNSS_IJLi1ELi2ELi3EEEESX_SY_SZ_NSS_IJLi7EEEENSS_IJLi8ELi9EEEENSS_IJLi10EEEES12_S13_S15_S14_NSS_IJLi15ELi16EEEENSS_IJLi17EEEEEEENSS_IJLi15ELi17ELi16EEEElEENSB_INS5_IJSQ_SO_SO_SQ_SG_EEENS5_IJST_SU_SV_SX_SW_EEENS5_IJNSS_IJLi1ELi2EEEESW_SX_NSS_IJLi5ELi6EEEES18_EEENSS_IJLi5ELi7ELi6EEEElEENSB_INS5_IJSK_SO_SO_EEENS5_IJST_SU_SV_EEENS5_IJS1I_SW_SX_EEENSS_IJLi3ELi4EEEElEELi128ELi128ELi16ELi2ELi4ELi4ELi1ENSS_IJLi8ELi2EEEES1S_NSS_IJLi8ELi1ELi1ELi2EEEENSS_IJLi2ELi1ELi128ELi1EEEENSS_IJLi1ELi2ELi0ELi3EEEES1V_NSS_IJLi4ELi1ELi1ELi2EEEES1V_NSS_IJLi1ELi1ELi1ELi2EEEES1T_S1U_S1V_S1V_S1W_S1V_S1X_NSS_IJLi0ELi1ELi2ELi3ELi4ELi5EEEELi5ELi4EEEDF16_NS5_IJPKDF16_EEEDF16_S8_S8_S9_NSB_INS5_IJSE_SG_SI_SG_SG_SK_SG_SM_SM_SO_SO_SQ_SG_SG_NSP_INS5_IJiNS_17integral_constantIiLi128EEEEEELb0EEENSF_INS23_IiLi2EEEEEEEENS5_IJST_SU_SV_SW_SX_SY_SZ_S10_S11_S12_S13_S14_S15_NSS_IJLi15EEEES1C_NSS_IJLi16EEEEEEENS5_IJS17_SX_SY_SZ_S18_S19_S1A_S12_S13_S15_S14_S1B_S1C_NSS_IJLi18EEEENSS_IJLi19ELi20EEEENSS_IJLi21EEEEEEENSS_IJLi18ELi19ELi20ELi21EEEElEENSB_INS5_IJSQ_SO_SO_SQ_SG_SG_S26_S28_EEENS5_IJST_SU_SV_SX_SW_SY_S18_SZ_EEENS5_IJS1I_SW_SX_S1J_S18_NSS_IJLi8EEEENSS_IJLi9ELi10EEEES12_EEENSS_IJLi8ELi9ELi10ELi11EEEElEENS5_IJNSB_INS5_IJSK_SO_SO_NSP_INS5_IJiS27_NS23_IiLi64EEEEEELb0EEES2S_EEENS5_IJST_SU_SV_SW_SX_EEENS5_IJS1I_SW_SX_NSS_IJLi5ELi6ELi7EEEENSS_IJLi8ELi9ELi10EEEEEEENSS_IJLi5ELi6ELi7ELi8ELi9ELi10EEEElEEEEES2Z_NS_31BlockToCTileMap_M00_N00_M01_N01ILi128ELi128ES1R_Lb0EEENS1_30ComputePtrOffsetOfStridedBatchILi1ELi1ELi1EvEELb0ELb0EEEvPKT0_S37_T1_PT2_T3_T4_T5_iT6_T7_T8_T9_T10_T11_.num_agpr, 0
	.set _ZN2ck16tensor_operation6device12_GLOBAL__N_137kernel_grouped_conv_fwd_dl_multiple_dINS_32GridwiseGemmDlMultipleD_km_kn_mnILi256EDF16_fNS_5TupleIJDF16_EEEDF16_NS0_12element_wise11PassThroughES8_NS7_7AddReluELNS_25InMemoryDataOperationEnumE0ENS_16TensorDescriptorINS5_IJNS_5EmbedINS5_IJiiiEEESD_Lb0EEENS_11PassThroughIiEENS_3PadIiiiLb0EEESG_SG_NSC_INS5_IJiiEEESJ_Lb0EEESG_NS_23Merge_v2_magic_divisionISJ_EESM_NS_8RightPadIiiLb0EEESO_NS_7UnMergeISJ_Lb0EEESG_EEENS5_IJNS_8SequenceIJLi0EEEENSS_IJLi1EEEENSS_IJLi2EEEENSS_IJLi3EEEENSS_IJLi4EEEENSS_IJLi5EEEENSS_IJLi6EEEENSS_IJLi7ELi9EEEENSS_IJLi8ELi10EEEENSS_IJLi11EEEENSS_IJLi12EEEENSS_IJLi14EEEENSS_IJLi13EEEEEEENS5_IJNSS_IJLi1ELi2ELi3EEEESX_SY_SZ_NSS_IJLi7EEEENSS_IJLi8ELi9EEEENSS_IJLi10EEEES12_S13_S15_S14_NSS_IJLi15ELi16EEEENSS_IJLi17EEEEEEENSS_IJLi15ELi17ELi16EEEElEENSB_INS5_IJSQ_SO_SO_SQ_SG_EEENS5_IJST_SU_SV_SX_SW_EEENS5_IJNSS_IJLi1ELi2EEEESW_SX_NSS_IJLi5ELi6EEEES18_EEENSS_IJLi5ELi7ELi6EEEElEENSB_INS5_IJSK_SO_SO_EEENS5_IJST_SU_SV_EEENS5_IJS1I_SW_SX_EEENSS_IJLi3ELi4EEEElEELi128ELi128ELi16ELi2ELi4ELi4ELi1ENSS_IJLi8ELi2EEEES1S_NSS_IJLi8ELi1ELi1ELi2EEEENSS_IJLi2ELi1ELi128ELi1EEEENSS_IJLi1ELi2ELi0ELi3EEEES1V_NSS_IJLi4ELi1ELi1ELi2EEEES1V_NSS_IJLi1ELi1ELi1ELi2EEEES1T_S1U_S1V_S1V_S1W_S1V_S1X_NSS_IJLi0ELi1ELi2ELi3ELi4ELi5EEEELi5ELi4EEEDF16_NS5_IJPKDF16_EEEDF16_S8_S8_S9_NSB_INS5_IJSE_SG_SI_SG_SG_SK_SG_SM_SM_SO_SO_SQ_SG_SG_NSP_INS5_IJiNS_17integral_constantIiLi128EEEEEELb0EEENSF_INS23_IiLi2EEEEEEEENS5_IJST_SU_SV_SW_SX_SY_SZ_S10_S11_S12_S13_S14_S15_NSS_IJLi15EEEES1C_NSS_IJLi16EEEEEEENS5_IJS17_SX_SY_SZ_S18_S19_S1A_S12_S13_S15_S14_S1B_S1C_NSS_IJLi18EEEENSS_IJLi19ELi20EEEENSS_IJLi21EEEEEEENSS_IJLi18ELi19ELi20ELi21EEEElEENSB_INS5_IJSQ_SO_SO_SQ_SG_SG_S26_S28_EEENS5_IJST_SU_SV_SX_SW_SY_S18_SZ_EEENS5_IJS1I_SW_SX_S1J_S18_NSS_IJLi8EEEENSS_IJLi9ELi10EEEES12_EEENSS_IJLi8ELi9ELi10ELi11EEEElEENS5_IJNSB_INS5_IJSK_SO_SO_NSP_INS5_IJiS27_NS23_IiLi64EEEEEELb0EEES2S_EEENS5_IJST_SU_SV_SW_SX_EEENS5_IJS1I_SW_SX_NSS_IJLi5ELi6ELi7EEEENSS_IJLi8ELi9ELi10EEEEEEENSS_IJLi5ELi6ELi7ELi8ELi9ELi10EEEElEEEEES2Z_NS_31BlockToCTileMap_M00_N00_M01_N01ILi128ELi128ES1R_Lb0EEENS1_30ComputePtrOffsetOfStridedBatchILi1ELi1ELi1EvEELb0ELb0EEEvPKT0_S37_T1_PT2_T3_T4_T5_iT6_T7_T8_T9_T10_T11_.numbered_sgpr, 44
	.set _ZN2ck16tensor_operation6device12_GLOBAL__N_137kernel_grouped_conv_fwd_dl_multiple_dINS_32GridwiseGemmDlMultipleD_km_kn_mnILi256EDF16_fNS_5TupleIJDF16_EEEDF16_NS0_12element_wise11PassThroughES8_NS7_7AddReluELNS_25InMemoryDataOperationEnumE0ENS_16TensorDescriptorINS5_IJNS_5EmbedINS5_IJiiiEEESD_Lb0EEENS_11PassThroughIiEENS_3PadIiiiLb0EEESG_SG_NSC_INS5_IJiiEEESJ_Lb0EEESG_NS_23Merge_v2_magic_divisionISJ_EESM_NS_8RightPadIiiLb0EEESO_NS_7UnMergeISJ_Lb0EEESG_EEENS5_IJNS_8SequenceIJLi0EEEENSS_IJLi1EEEENSS_IJLi2EEEENSS_IJLi3EEEENSS_IJLi4EEEENSS_IJLi5EEEENSS_IJLi6EEEENSS_IJLi7ELi9EEEENSS_IJLi8ELi10EEEENSS_IJLi11EEEENSS_IJLi12EEEENSS_IJLi14EEEENSS_IJLi13EEEEEEENS5_IJNSS_IJLi1ELi2ELi3EEEESX_SY_SZ_NSS_IJLi7EEEENSS_IJLi8ELi9EEEENSS_IJLi10EEEES12_S13_S15_S14_NSS_IJLi15ELi16EEEENSS_IJLi17EEEEEEENSS_IJLi15ELi17ELi16EEEElEENSB_INS5_IJSQ_SO_SO_SQ_SG_EEENS5_IJST_SU_SV_SX_SW_EEENS5_IJNSS_IJLi1ELi2EEEESW_SX_NSS_IJLi5ELi6EEEES18_EEENSS_IJLi5ELi7ELi6EEEElEENSB_INS5_IJSK_SO_SO_EEENS5_IJST_SU_SV_EEENS5_IJS1I_SW_SX_EEENSS_IJLi3ELi4EEEElEELi128ELi128ELi16ELi2ELi4ELi4ELi1ENSS_IJLi8ELi2EEEES1S_NSS_IJLi8ELi1ELi1ELi2EEEENSS_IJLi2ELi1ELi128ELi1EEEENSS_IJLi1ELi2ELi0ELi3EEEES1V_NSS_IJLi4ELi1ELi1ELi2EEEES1V_NSS_IJLi1ELi1ELi1ELi2EEEES1T_S1U_S1V_S1V_S1W_S1V_S1X_NSS_IJLi0ELi1ELi2ELi3ELi4ELi5EEEELi5ELi4EEEDF16_NS5_IJPKDF16_EEEDF16_S8_S8_S9_NSB_INS5_IJSE_SG_SI_SG_SG_SK_SG_SM_SM_SO_SO_SQ_SG_SG_NSP_INS5_IJiNS_17integral_constantIiLi128EEEEEELb0EEENSF_INS23_IiLi2EEEEEEEENS5_IJST_SU_SV_SW_SX_SY_SZ_S10_S11_S12_S13_S14_S15_NSS_IJLi15EEEES1C_NSS_IJLi16EEEEEEENS5_IJS17_SX_SY_SZ_S18_S19_S1A_S12_S13_S15_S14_S1B_S1C_NSS_IJLi18EEEENSS_IJLi19ELi20EEEENSS_IJLi21EEEEEEENSS_IJLi18ELi19ELi20ELi21EEEElEENSB_INS5_IJSQ_SO_SO_SQ_SG_SG_S26_S28_EEENS5_IJST_SU_SV_SX_SW_SY_S18_SZ_EEENS5_IJS1I_SW_SX_S1J_S18_NSS_IJLi8EEEENSS_IJLi9ELi10EEEES12_EEENSS_IJLi8ELi9ELi10ELi11EEEElEENS5_IJNSB_INS5_IJSK_SO_SO_NSP_INS5_IJiS27_NS23_IiLi64EEEEEELb0EEES2S_EEENS5_IJST_SU_SV_SW_SX_EEENS5_IJS1I_SW_SX_NSS_IJLi5ELi6ELi7EEEENSS_IJLi8ELi9ELi10EEEEEEENSS_IJLi5ELi6ELi7ELi8ELi9ELi10EEEElEEEEES2Z_NS_31BlockToCTileMap_M00_N00_M01_N01ILi128ELi128ES1R_Lb0EEENS1_30ComputePtrOffsetOfStridedBatchILi1ELi1ELi1EvEELb0ELb0EEEvPKT0_S37_T1_PT2_T3_T4_T5_iT6_T7_T8_T9_T10_T11_.num_named_barrier, 0
	.set _ZN2ck16tensor_operation6device12_GLOBAL__N_137kernel_grouped_conv_fwd_dl_multiple_dINS_32GridwiseGemmDlMultipleD_km_kn_mnILi256EDF16_fNS_5TupleIJDF16_EEEDF16_NS0_12element_wise11PassThroughES8_NS7_7AddReluELNS_25InMemoryDataOperationEnumE0ENS_16TensorDescriptorINS5_IJNS_5EmbedINS5_IJiiiEEESD_Lb0EEENS_11PassThroughIiEENS_3PadIiiiLb0EEESG_SG_NSC_INS5_IJiiEEESJ_Lb0EEESG_NS_23Merge_v2_magic_divisionISJ_EESM_NS_8RightPadIiiLb0EEESO_NS_7UnMergeISJ_Lb0EEESG_EEENS5_IJNS_8SequenceIJLi0EEEENSS_IJLi1EEEENSS_IJLi2EEEENSS_IJLi3EEEENSS_IJLi4EEEENSS_IJLi5EEEENSS_IJLi6EEEENSS_IJLi7ELi9EEEENSS_IJLi8ELi10EEEENSS_IJLi11EEEENSS_IJLi12EEEENSS_IJLi14EEEENSS_IJLi13EEEEEEENS5_IJNSS_IJLi1ELi2ELi3EEEESX_SY_SZ_NSS_IJLi7EEEENSS_IJLi8ELi9EEEENSS_IJLi10EEEES12_S13_S15_S14_NSS_IJLi15ELi16EEEENSS_IJLi17EEEEEEENSS_IJLi15ELi17ELi16EEEElEENSB_INS5_IJSQ_SO_SO_SQ_SG_EEENS5_IJST_SU_SV_SX_SW_EEENS5_IJNSS_IJLi1ELi2EEEESW_SX_NSS_IJLi5ELi6EEEES18_EEENSS_IJLi5ELi7ELi6EEEElEENSB_INS5_IJSK_SO_SO_EEENS5_IJST_SU_SV_EEENS5_IJS1I_SW_SX_EEENSS_IJLi3ELi4EEEElEELi128ELi128ELi16ELi2ELi4ELi4ELi1ENSS_IJLi8ELi2EEEES1S_NSS_IJLi8ELi1ELi1ELi2EEEENSS_IJLi2ELi1ELi128ELi1EEEENSS_IJLi1ELi2ELi0ELi3EEEES1V_NSS_IJLi4ELi1ELi1ELi2EEEES1V_NSS_IJLi1ELi1ELi1ELi2EEEES1T_S1U_S1V_S1V_S1W_S1V_S1X_NSS_IJLi0ELi1ELi2ELi3ELi4ELi5EEEELi5ELi4EEEDF16_NS5_IJPKDF16_EEEDF16_S8_S8_S9_NSB_INS5_IJSE_SG_SI_SG_SG_SK_SG_SM_SM_SO_SO_SQ_SG_SG_NSP_INS5_IJiNS_17integral_constantIiLi128EEEEEELb0EEENSF_INS23_IiLi2EEEEEEEENS5_IJST_SU_SV_SW_SX_SY_SZ_S10_S11_S12_S13_S14_S15_NSS_IJLi15EEEES1C_NSS_IJLi16EEEEEEENS5_IJS17_SX_SY_SZ_S18_S19_S1A_S12_S13_S15_S14_S1B_S1C_NSS_IJLi18EEEENSS_IJLi19ELi20EEEENSS_IJLi21EEEEEEENSS_IJLi18ELi19ELi20ELi21EEEElEENSB_INS5_IJSQ_SO_SO_SQ_SG_SG_S26_S28_EEENS5_IJST_SU_SV_SX_SW_SY_S18_SZ_EEENS5_IJS1I_SW_SX_S1J_S18_NSS_IJLi8EEEENSS_IJLi9ELi10EEEES12_EEENSS_IJLi8ELi9ELi10ELi11EEEElEENS5_IJNSB_INS5_IJSK_SO_SO_NSP_INS5_IJiS27_NS23_IiLi64EEEEEELb0EEES2S_EEENS5_IJST_SU_SV_SW_SX_EEENS5_IJS1I_SW_SX_NSS_IJLi5ELi6ELi7EEEENSS_IJLi8ELi9ELi10EEEEEEENSS_IJLi5ELi6ELi7ELi8ELi9ELi10EEEElEEEEES2Z_NS_31BlockToCTileMap_M00_N00_M01_N01ILi128ELi128ES1R_Lb0EEENS1_30ComputePtrOffsetOfStridedBatchILi1ELi1ELi1EvEELb0ELb0EEEvPKT0_S37_T1_PT2_T3_T4_T5_iT6_T7_T8_T9_T10_T11_.private_seg_size, 0
	.set _ZN2ck16tensor_operation6device12_GLOBAL__N_137kernel_grouped_conv_fwd_dl_multiple_dINS_32GridwiseGemmDlMultipleD_km_kn_mnILi256EDF16_fNS_5TupleIJDF16_EEEDF16_NS0_12element_wise11PassThroughES8_NS7_7AddReluELNS_25InMemoryDataOperationEnumE0ENS_16TensorDescriptorINS5_IJNS_5EmbedINS5_IJiiiEEESD_Lb0EEENS_11PassThroughIiEENS_3PadIiiiLb0EEESG_SG_NSC_INS5_IJiiEEESJ_Lb0EEESG_NS_23Merge_v2_magic_divisionISJ_EESM_NS_8RightPadIiiLb0EEESO_NS_7UnMergeISJ_Lb0EEESG_EEENS5_IJNS_8SequenceIJLi0EEEENSS_IJLi1EEEENSS_IJLi2EEEENSS_IJLi3EEEENSS_IJLi4EEEENSS_IJLi5EEEENSS_IJLi6EEEENSS_IJLi7ELi9EEEENSS_IJLi8ELi10EEEENSS_IJLi11EEEENSS_IJLi12EEEENSS_IJLi14EEEENSS_IJLi13EEEEEEENS5_IJNSS_IJLi1ELi2ELi3EEEESX_SY_SZ_NSS_IJLi7EEEENSS_IJLi8ELi9EEEENSS_IJLi10EEEES12_S13_S15_S14_NSS_IJLi15ELi16EEEENSS_IJLi17EEEEEEENSS_IJLi15ELi17ELi16EEEElEENSB_INS5_IJSQ_SO_SO_SQ_SG_EEENS5_IJST_SU_SV_SX_SW_EEENS5_IJNSS_IJLi1ELi2EEEESW_SX_NSS_IJLi5ELi6EEEES18_EEENSS_IJLi5ELi7ELi6EEEElEENSB_INS5_IJSK_SO_SO_EEENS5_IJST_SU_SV_EEENS5_IJS1I_SW_SX_EEENSS_IJLi3ELi4EEEElEELi128ELi128ELi16ELi2ELi4ELi4ELi1ENSS_IJLi8ELi2EEEES1S_NSS_IJLi8ELi1ELi1ELi2EEEENSS_IJLi2ELi1ELi128ELi1EEEENSS_IJLi1ELi2ELi0ELi3EEEES1V_NSS_IJLi4ELi1ELi1ELi2EEEES1V_NSS_IJLi1ELi1ELi1ELi2EEEES1T_S1U_S1V_S1V_S1W_S1V_S1X_NSS_IJLi0ELi1ELi2ELi3ELi4ELi5EEEELi5ELi4EEEDF16_NS5_IJPKDF16_EEEDF16_S8_S8_S9_NSB_INS5_IJSE_SG_SI_SG_SG_SK_SG_SM_SM_SO_SO_SQ_SG_SG_NSP_INS5_IJiNS_17integral_constantIiLi128EEEEEELb0EEENSF_INS23_IiLi2EEEEEEEENS5_IJST_SU_SV_SW_SX_SY_SZ_S10_S11_S12_S13_S14_S15_NSS_IJLi15EEEES1C_NSS_IJLi16EEEEEEENS5_IJS17_SX_SY_SZ_S18_S19_S1A_S12_S13_S15_S14_S1B_S1C_NSS_IJLi18EEEENSS_IJLi19ELi20EEEENSS_IJLi21EEEEEEENSS_IJLi18ELi19ELi20ELi21EEEElEENSB_INS5_IJSQ_SO_SO_SQ_SG_SG_S26_S28_EEENS5_IJST_SU_SV_SX_SW_SY_S18_SZ_EEENS5_IJS1I_SW_SX_S1J_S18_NSS_IJLi8EEEENSS_IJLi9ELi10EEEES12_EEENSS_IJLi8ELi9ELi10ELi11EEEElEENS5_IJNSB_INS5_IJSK_SO_SO_NSP_INS5_IJiS27_NS23_IiLi64EEEEEELb0EEES2S_EEENS5_IJST_SU_SV_SW_SX_EEENS5_IJS1I_SW_SX_NSS_IJLi5ELi6ELi7EEEENSS_IJLi8ELi9ELi10EEEEEEENSS_IJLi5ELi6ELi7ELi8ELi9ELi10EEEElEEEEES2Z_NS_31BlockToCTileMap_M00_N00_M01_N01ILi128ELi128ES1R_Lb0EEENS1_30ComputePtrOffsetOfStridedBatchILi1ELi1ELi1EvEELb0ELb0EEEvPKT0_S37_T1_PT2_T3_T4_T5_iT6_T7_T8_T9_T10_T11_.uses_vcc, 1
	.set _ZN2ck16tensor_operation6device12_GLOBAL__N_137kernel_grouped_conv_fwd_dl_multiple_dINS_32GridwiseGemmDlMultipleD_km_kn_mnILi256EDF16_fNS_5TupleIJDF16_EEEDF16_NS0_12element_wise11PassThroughES8_NS7_7AddReluELNS_25InMemoryDataOperationEnumE0ENS_16TensorDescriptorINS5_IJNS_5EmbedINS5_IJiiiEEESD_Lb0EEENS_11PassThroughIiEENS_3PadIiiiLb0EEESG_SG_NSC_INS5_IJiiEEESJ_Lb0EEESG_NS_23Merge_v2_magic_divisionISJ_EESM_NS_8RightPadIiiLb0EEESO_NS_7UnMergeISJ_Lb0EEESG_EEENS5_IJNS_8SequenceIJLi0EEEENSS_IJLi1EEEENSS_IJLi2EEEENSS_IJLi3EEEENSS_IJLi4EEEENSS_IJLi5EEEENSS_IJLi6EEEENSS_IJLi7ELi9EEEENSS_IJLi8ELi10EEEENSS_IJLi11EEEENSS_IJLi12EEEENSS_IJLi14EEEENSS_IJLi13EEEEEEENS5_IJNSS_IJLi1ELi2ELi3EEEESX_SY_SZ_NSS_IJLi7EEEENSS_IJLi8ELi9EEEENSS_IJLi10EEEES12_S13_S15_S14_NSS_IJLi15ELi16EEEENSS_IJLi17EEEEEEENSS_IJLi15ELi17ELi16EEEElEENSB_INS5_IJSQ_SO_SO_SQ_SG_EEENS5_IJST_SU_SV_SX_SW_EEENS5_IJNSS_IJLi1ELi2EEEESW_SX_NSS_IJLi5ELi6EEEES18_EEENSS_IJLi5ELi7ELi6EEEElEENSB_INS5_IJSK_SO_SO_EEENS5_IJST_SU_SV_EEENS5_IJS1I_SW_SX_EEENSS_IJLi3ELi4EEEElEELi128ELi128ELi16ELi2ELi4ELi4ELi1ENSS_IJLi8ELi2EEEES1S_NSS_IJLi8ELi1ELi1ELi2EEEENSS_IJLi2ELi1ELi128ELi1EEEENSS_IJLi1ELi2ELi0ELi3EEEES1V_NSS_IJLi4ELi1ELi1ELi2EEEES1V_NSS_IJLi1ELi1ELi1ELi2EEEES1T_S1U_S1V_S1V_S1W_S1V_S1X_NSS_IJLi0ELi1ELi2ELi3ELi4ELi5EEEELi5ELi4EEEDF16_NS5_IJPKDF16_EEEDF16_S8_S8_S9_NSB_INS5_IJSE_SG_SI_SG_SG_SK_SG_SM_SM_SO_SO_SQ_SG_SG_NSP_INS5_IJiNS_17integral_constantIiLi128EEEEEELb0EEENSF_INS23_IiLi2EEEEEEEENS5_IJST_SU_SV_SW_SX_SY_SZ_S10_S11_S12_S13_S14_S15_NSS_IJLi15EEEES1C_NSS_IJLi16EEEEEEENS5_IJS17_SX_SY_SZ_S18_S19_S1A_S12_S13_S15_S14_S1B_S1C_NSS_IJLi18EEEENSS_IJLi19ELi20EEEENSS_IJLi21EEEEEEENSS_IJLi18ELi19ELi20ELi21EEEElEENSB_INS5_IJSQ_SO_SO_SQ_SG_SG_S26_S28_EEENS5_IJST_SU_SV_SX_SW_SY_S18_SZ_EEENS5_IJS1I_SW_SX_S1J_S18_NSS_IJLi8EEEENSS_IJLi9ELi10EEEES12_EEENSS_IJLi8ELi9ELi10ELi11EEEElEENS5_IJNSB_INS5_IJSK_SO_SO_NSP_INS5_IJiS27_NS23_IiLi64EEEEEELb0EEES2S_EEENS5_IJST_SU_SV_SW_SX_EEENS5_IJS1I_SW_SX_NSS_IJLi5ELi6ELi7EEEENSS_IJLi8ELi9ELi10EEEEEEENSS_IJLi5ELi6ELi7ELi8ELi9ELi10EEEElEEEEES2Z_NS_31BlockToCTileMap_M00_N00_M01_N01ILi128ELi128ES1R_Lb0EEENS1_30ComputePtrOffsetOfStridedBatchILi1ELi1ELi1EvEELb0ELb0EEEvPKT0_S37_T1_PT2_T3_T4_T5_iT6_T7_T8_T9_T10_T11_.uses_flat_scratch, 0
	.set _ZN2ck16tensor_operation6device12_GLOBAL__N_137kernel_grouped_conv_fwd_dl_multiple_dINS_32GridwiseGemmDlMultipleD_km_kn_mnILi256EDF16_fNS_5TupleIJDF16_EEEDF16_NS0_12element_wise11PassThroughES8_NS7_7AddReluELNS_25InMemoryDataOperationEnumE0ENS_16TensorDescriptorINS5_IJNS_5EmbedINS5_IJiiiEEESD_Lb0EEENS_11PassThroughIiEENS_3PadIiiiLb0EEESG_SG_NSC_INS5_IJiiEEESJ_Lb0EEESG_NS_23Merge_v2_magic_divisionISJ_EESM_NS_8RightPadIiiLb0EEESO_NS_7UnMergeISJ_Lb0EEESG_EEENS5_IJNS_8SequenceIJLi0EEEENSS_IJLi1EEEENSS_IJLi2EEEENSS_IJLi3EEEENSS_IJLi4EEEENSS_IJLi5EEEENSS_IJLi6EEEENSS_IJLi7ELi9EEEENSS_IJLi8ELi10EEEENSS_IJLi11EEEENSS_IJLi12EEEENSS_IJLi14EEEENSS_IJLi13EEEEEEENS5_IJNSS_IJLi1ELi2ELi3EEEESX_SY_SZ_NSS_IJLi7EEEENSS_IJLi8ELi9EEEENSS_IJLi10EEEES12_S13_S15_S14_NSS_IJLi15ELi16EEEENSS_IJLi17EEEEEEENSS_IJLi15ELi17ELi16EEEElEENSB_INS5_IJSQ_SO_SO_SQ_SG_EEENS5_IJST_SU_SV_SX_SW_EEENS5_IJNSS_IJLi1ELi2EEEESW_SX_NSS_IJLi5ELi6EEEES18_EEENSS_IJLi5ELi7ELi6EEEElEENSB_INS5_IJSK_SO_SO_EEENS5_IJST_SU_SV_EEENS5_IJS1I_SW_SX_EEENSS_IJLi3ELi4EEEElEELi128ELi128ELi16ELi2ELi4ELi4ELi1ENSS_IJLi8ELi2EEEES1S_NSS_IJLi8ELi1ELi1ELi2EEEENSS_IJLi2ELi1ELi128ELi1EEEENSS_IJLi1ELi2ELi0ELi3EEEES1V_NSS_IJLi4ELi1ELi1ELi2EEEES1V_NSS_IJLi1ELi1ELi1ELi2EEEES1T_S1U_S1V_S1V_S1W_S1V_S1X_NSS_IJLi0ELi1ELi2ELi3ELi4ELi5EEEELi5ELi4EEEDF16_NS5_IJPKDF16_EEEDF16_S8_S8_S9_NSB_INS5_IJSE_SG_SI_SG_SG_SK_SG_SM_SM_SO_SO_SQ_SG_SG_NSP_INS5_IJiNS_17integral_constantIiLi128EEEEEELb0EEENSF_INS23_IiLi2EEEEEEEENS5_IJST_SU_SV_SW_SX_SY_SZ_S10_S11_S12_S13_S14_S15_NSS_IJLi15EEEES1C_NSS_IJLi16EEEEEEENS5_IJS17_SX_SY_SZ_S18_S19_S1A_S12_S13_S15_S14_S1B_S1C_NSS_IJLi18EEEENSS_IJLi19ELi20EEEENSS_IJLi21EEEEEEENSS_IJLi18ELi19ELi20ELi21EEEElEENSB_INS5_IJSQ_SO_SO_SQ_SG_SG_S26_S28_EEENS5_IJST_SU_SV_SX_SW_SY_S18_SZ_EEENS5_IJS1I_SW_SX_S1J_S18_NSS_IJLi8EEEENSS_IJLi9ELi10EEEES12_EEENSS_IJLi8ELi9ELi10ELi11EEEElEENS5_IJNSB_INS5_IJSK_SO_SO_NSP_INS5_IJiS27_NS23_IiLi64EEEEEELb0EEES2S_EEENS5_IJST_SU_SV_SW_SX_EEENS5_IJS1I_SW_SX_NSS_IJLi5ELi6ELi7EEEENSS_IJLi8ELi9ELi10EEEEEEENSS_IJLi5ELi6ELi7ELi8ELi9ELi10EEEElEEEEES2Z_NS_31BlockToCTileMap_M00_N00_M01_N01ILi128ELi128ES1R_Lb0EEENS1_30ComputePtrOffsetOfStridedBatchILi1ELi1ELi1EvEELb0ELb0EEEvPKT0_S37_T1_PT2_T3_T4_T5_iT6_T7_T8_T9_T10_T11_.has_dyn_sized_stack, 0
	.set _ZN2ck16tensor_operation6device12_GLOBAL__N_137kernel_grouped_conv_fwd_dl_multiple_dINS_32GridwiseGemmDlMultipleD_km_kn_mnILi256EDF16_fNS_5TupleIJDF16_EEEDF16_NS0_12element_wise11PassThroughES8_NS7_7AddReluELNS_25InMemoryDataOperationEnumE0ENS_16TensorDescriptorINS5_IJNS_5EmbedINS5_IJiiiEEESD_Lb0EEENS_11PassThroughIiEENS_3PadIiiiLb0EEESG_SG_NSC_INS5_IJiiEEESJ_Lb0EEESG_NS_23Merge_v2_magic_divisionISJ_EESM_NS_8RightPadIiiLb0EEESO_NS_7UnMergeISJ_Lb0EEESG_EEENS5_IJNS_8SequenceIJLi0EEEENSS_IJLi1EEEENSS_IJLi2EEEENSS_IJLi3EEEENSS_IJLi4EEEENSS_IJLi5EEEENSS_IJLi6EEEENSS_IJLi7ELi9EEEENSS_IJLi8ELi10EEEENSS_IJLi11EEEENSS_IJLi12EEEENSS_IJLi14EEEENSS_IJLi13EEEEEEENS5_IJNSS_IJLi1ELi2ELi3EEEESX_SY_SZ_NSS_IJLi7EEEENSS_IJLi8ELi9EEEENSS_IJLi10EEEES12_S13_S15_S14_NSS_IJLi15ELi16EEEENSS_IJLi17EEEEEEENSS_IJLi15ELi17ELi16EEEElEENSB_INS5_IJSQ_SO_SO_SQ_SG_EEENS5_IJST_SU_SV_SX_SW_EEENS5_IJNSS_IJLi1ELi2EEEESW_SX_NSS_IJLi5ELi6EEEES18_EEENSS_IJLi5ELi7ELi6EEEElEENSB_INS5_IJSK_SO_SO_EEENS5_IJST_SU_SV_EEENS5_IJS1I_SW_SX_EEENSS_IJLi3ELi4EEEElEELi128ELi128ELi16ELi2ELi4ELi4ELi1ENSS_IJLi8ELi2EEEES1S_NSS_IJLi8ELi1ELi1ELi2EEEENSS_IJLi2ELi1ELi128ELi1EEEENSS_IJLi1ELi2ELi0ELi3EEEES1V_NSS_IJLi4ELi1ELi1ELi2EEEES1V_NSS_IJLi1ELi1ELi1ELi2EEEES1T_S1U_S1V_S1V_S1W_S1V_S1X_NSS_IJLi0ELi1ELi2ELi3ELi4ELi5EEEELi5ELi4EEEDF16_NS5_IJPKDF16_EEEDF16_S8_S8_S9_NSB_INS5_IJSE_SG_SI_SG_SG_SK_SG_SM_SM_SO_SO_SQ_SG_SG_NSP_INS5_IJiNS_17integral_constantIiLi128EEEEEELb0EEENSF_INS23_IiLi2EEEEEEEENS5_IJST_SU_SV_SW_SX_SY_SZ_S10_S11_S12_S13_S14_S15_NSS_IJLi15EEEES1C_NSS_IJLi16EEEEEEENS5_IJS17_SX_SY_SZ_S18_S19_S1A_S12_S13_S15_S14_S1B_S1C_NSS_IJLi18EEEENSS_IJLi19ELi20EEEENSS_IJLi21EEEEEEENSS_IJLi18ELi19ELi20ELi21EEEElEENSB_INS5_IJSQ_SO_SO_SQ_SG_SG_S26_S28_EEENS5_IJST_SU_SV_SX_SW_SY_S18_SZ_EEENS5_IJS1I_SW_SX_S1J_S18_NSS_IJLi8EEEENSS_IJLi9ELi10EEEES12_EEENSS_IJLi8ELi9ELi10ELi11EEEElEENS5_IJNSB_INS5_IJSK_SO_SO_NSP_INS5_IJiS27_NS23_IiLi64EEEEEELb0EEES2S_EEENS5_IJST_SU_SV_SW_SX_EEENS5_IJS1I_SW_SX_NSS_IJLi5ELi6ELi7EEEENSS_IJLi8ELi9ELi10EEEEEEENSS_IJLi5ELi6ELi7ELi8ELi9ELi10EEEElEEEEES2Z_NS_31BlockToCTileMap_M00_N00_M01_N01ILi128ELi128ES1R_Lb0EEENS1_30ComputePtrOffsetOfStridedBatchILi1ELi1ELi1EvEELb0ELb0EEEvPKT0_S37_T1_PT2_T3_T4_T5_iT6_T7_T8_T9_T10_T11_.has_recursion, 0
	.set _ZN2ck16tensor_operation6device12_GLOBAL__N_137kernel_grouped_conv_fwd_dl_multiple_dINS_32GridwiseGemmDlMultipleD_km_kn_mnILi256EDF16_fNS_5TupleIJDF16_EEEDF16_NS0_12element_wise11PassThroughES8_NS7_7AddReluELNS_25InMemoryDataOperationEnumE0ENS_16TensorDescriptorINS5_IJNS_5EmbedINS5_IJiiiEEESD_Lb0EEENS_11PassThroughIiEENS_3PadIiiiLb0EEESG_SG_NSC_INS5_IJiiEEESJ_Lb0EEESG_NS_23Merge_v2_magic_divisionISJ_EESM_NS_8RightPadIiiLb0EEESO_NS_7UnMergeISJ_Lb0EEESG_EEENS5_IJNS_8SequenceIJLi0EEEENSS_IJLi1EEEENSS_IJLi2EEEENSS_IJLi3EEEENSS_IJLi4EEEENSS_IJLi5EEEENSS_IJLi6EEEENSS_IJLi7ELi9EEEENSS_IJLi8ELi10EEEENSS_IJLi11EEEENSS_IJLi12EEEENSS_IJLi14EEEENSS_IJLi13EEEEEEENS5_IJNSS_IJLi1ELi2ELi3EEEESX_SY_SZ_NSS_IJLi7EEEENSS_IJLi8ELi9EEEENSS_IJLi10EEEES12_S13_S15_S14_NSS_IJLi15ELi16EEEENSS_IJLi17EEEEEEENSS_IJLi15ELi17ELi16EEEElEENSB_INS5_IJSQ_SO_SO_SQ_SG_EEENS5_IJST_SU_SV_SX_SW_EEENS5_IJNSS_IJLi1ELi2EEEESW_SX_NSS_IJLi5ELi6EEEES18_EEENSS_IJLi5ELi7ELi6EEEElEENSB_INS5_IJSK_SO_SO_EEENS5_IJST_SU_SV_EEENS5_IJS1I_SW_SX_EEENSS_IJLi3ELi4EEEElEELi128ELi128ELi16ELi2ELi4ELi4ELi1ENSS_IJLi8ELi2EEEES1S_NSS_IJLi8ELi1ELi1ELi2EEEENSS_IJLi2ELi1ELi128ELi1EEEENSS_IJLi1ELi2ELi0ELi3EEEES1V_NSS_IJLi4ELi1ELi1ELi2EEEES1V_NSS_IJLi1ELi1ELi1ELi2EEEES1T_S1U_S1V_S1V_S1W_S1V_S1X_NSS_IJLi0ELi1ELi2ELi3ELi4ELi5EEEELi5ELi4EEEDF16_NS5_IJPKDF16_EEEDF16_S8_S8_S9_NSB_INS5_IJSE_SG_SI_SG_SG_SK_SG_SM_SM_SO_SO_SQ_SG_SG_NSP_INS5_IJiNS_17integral_constantIiLi128EEEEEELb0EEENSF_INS23_IiLi2EEEEEEEENS5_IJST_SU_SV_SW_SX_SY_SZ_S10_S11_S12_S13_S14_S15_NSS_IJLi15EEEES1C_NSS_IJLi16EEEEEEENS5_IJS17_SX_SY_SZ_S18_S19_S1A_S12_S13_S15_S14_S1B_S1C_NSS_IJLi18EEEENSS_IJLi19ELi20EEEENSS_IJLi21EEEEEEENSS_IJLi18ELi19ELi20ELi21EEEElEENSB_INS5_IJSQ_SO_SO_SQ_SG_SG_S26_S28_EEENS5_IJST_SU_SV_SX_SW_SY_S18_SZ_EEENS5_IJS1I_SW_SX_S1J_S18_NSS_IJLi8EEEENSS_IJLi9ELi10EEEES12_EEENSS_IJLi8ELi9ELi10ELi11EEEElEENS5_IJNSB_INS5_IJSK_SO_SO_NSP_INS5_IJiS27_NS23_IiLi64EEEEEELb0EEES2S_EEENS5_IJST_SU_SV_SW_SX_EEENS5_IJS1I_SW_SX_NSS_IJLi5ELi6ELi7EEEENSS_IJLi8ELi9ELi10EEEEEEENSS_IJLi5ELi6ELi7ELi8ELi9ELi10EEEElEEEEES2Z_NS_31BlockToCTileMap_M00_N00_M01_N01ILi128ELi128ES1R_Lb0EEENS1_30ComputePtrOffsetOfStridedBatchILi1ELi1ELi1EvEELb0ELb0EEEvPKT0_S37_T1_PT2_T3_T4_T5_iT6_T7_T8_T9_T10_T11_.has_indirect_call, 0
	.section	.AMDGPU.csdata,"",@progbits
; Kernel info:
; codeLenInByte = 9424
; TotalNumSgprs: 46
; NumVgprs: 124
; ScratchSize: 0
; MemoryBound: 0
; FloatMode: 240
; IeeeMode: 1
; LDSByteSize: 32768 bytes/workgroup (compile time only)
; SGPRBlocks: 0
; VGPRBlocks: 15
; NumSGPRsForWavesPerEU: 46
; NumVGPRsForWavesPerEU: 124
; Occupancy: 8
; WaveLimiterHint : 0
; COMPUTE_PGM_RSRC2:SCRATCH_EN: 0
; COMPUTE_PGM_RSRC2:USER_SGPR: 6
; COMPUTE_PGM_RSRC2:TRAP_HANDLER: 0
; COMPUTE_PGM_RSRC2:TGID_X_EN: 1
; COMPUTE_PGM_RSRC2:TGID_Y_EN: 0
; COMPUTE_PGM_RSRC2:TGID_Z_EN: 0
; COMPUTE_PGM_RSRC2:TIDIG_COMP_CNT: 0
	.section	.text._ZN2ck16tensor_operation6device12_GLOBAL__N_137kernel_grouped_conv_fwd_dl_multiple_dINS_32GridwiseGemmDlMultipleD_km_kn_mnILi256EDF16_fNS_5TupleIJDF16_EEEDF16_NS0_12element_wise11PassThroughES8_NS7_7AddReluELNS_25InMemoryDataOperationEnumE0ENS_16TensorDescriptorINS5_IJNS_5EmbedINS5_IJiiiiEEESD_Lb0EEENS_11PassThroughIiEENS_3PadIiiiLb0EEESI_SG_SG_NSC_INS5_IJiiEEESJ_Lb0EEESK_SG_NS_23Merge_v2_magic_divisionINS5_IJiiiEEEEESN_NS_8RightPadIiiLb0EEESP_NS_7UnMergeISJ_Lb0EEESG_EEENS5_IJNS_8SequenceIJLi0EEEENST_IJLi1EEEENST_IJLi2EEEENST_IJLi3EEEENST_IJLi4EEEENST_IJLi5EEEENST_IJLi6EEEENST_IJLi7EEEENST_IJLi8EEEENST_IJLi9ELi11ELi13EEEENST_IJLi10ELi12ELi14EEEENST_IJLi15EEEENST_IJLi16EEEENST_IJLi18EEEENST_IJLi17EEEEEEENS5_IJNST_IJLi1ELi2ELi3ELi4EEEESZ_S10_S11_S12_NST_IJLi9EEEENST_IJLi10ELi11EEEENST_IJLi12ELi13EEEENST_IJLi14EEEES15_S16_S18_S17_NST_IJLi19ELi20EEEENST_IJLi21EEEEEEENST_IJLi19ELi21ELi20EEEElEENSB_INS5_IJSR_SP_SP_SR_SG_EEENS5_IJSU_SV_SW_SY_SX_EEENS5_IJNST_IJLi1ELi2EEEESX_SY_NST_IJLi5ELi6EEEES11_EEENST_IJLi5ELi7ELi6EEEElEENSB_INS5_IJSK_SP_SP_EEENS5_IJSU_SV_SW_EEENS5_IJS1M_SX_SY_EEENST_IJLi3ELi4EEEElEELi128ELi128ELi16ELi2ELi4ELi4ELi1ENST_IJLi8ELi2EEEES1W_NST_IJLi8ELi1ELi1ELi2EEEENST_IJLi2ELi1ELi128ELi1EEEENST_IJLi1ELi2ELi0ELi3EEEES1Z_NST_IJLi4ELi1ELi1ELi2EEEES1Z_NST_IJLi1ELi1ELi1ELi2EEEES1X_S1Y_S1Z_S1Z_S20_S1Z_S21_NST_IJLi0ELi1ELi2ELi3ELi4ELi5EEEELi5ELi4EEEDF16_NS5_IJPKDF16_EEEDF16_S8_S8_S9_NSB_INS5_IJSE_SG_SI_SI_SG_SG_SK_SK_SG_SN_SN_SP_SP_SR_SG_SG_NSQ_INS5_IJiNS_17integral_constantIiLi128EEEEEELb0EEENSF_INS27_IiLi2EEEEEEEENS5_IJSU_SV_SW_SX_SY_SZ_S10_S11_S12_S13_S14_S15_S16_S17_S18_NST_IJLi19EEEES1G_NST_IJLi20EEEEEEENS5_IJS1A_SZ_S10_S11_S12_S1B_S1C_S1D_S1E_S15_S16_S18_S17_S1F_S1G_NST_IJLi22EEEENST_IJLi23ELi24EEEENST_IJLi25EEEEEEENST_IJLi22ELi23ELi24ELi25EEEElEENSB_INS5_IJSR_SP_SP_SR_SG_SG_S2A_S2C_EEENS5_IJSU_SV_SW_SY_SX_SZ_S11_S10_EEENS5_IJS1M_SX_SY_S1N_S11_S12_NST_IJLi9ELi10EEEENST_IJLi11EEEEEEENST_IJLi8ELi9ELi10ELi11EEEElEENS5_IJNSB_INS5_IJSK_SP_SP_NSQ_INS5_IJiS2B_NS27_IiLi64EEEEEELb0EEES2W_EEENS5_IJSU_SV_SW_SX_SY_EEENS5_IJS1M_SX_SY_NST_IJLi5ELi6ELi7EEEENST_IJLi8ELi9ELi10EEEEEEENST_IJLi5ELi6ELi7ELi8ELi9ELi10EEEElEEEEES33_NS_31BlockToCTileMap_M00_N00_M01_N01ILi128ELi128ES1V_Lb0EEENS1_30ComputePtrOffsetOfStridedBatchILi1ELi1ELi1EvEELb1ELb1EEEvPKT0_S3B_T1_PT2_T3_T4_T5_iT6_T7_T8_T9_T10_T11_,"axG",@progbits,_ZN2ck16tensor_operation6device12_GLOBAL__N_137kernel_grouped_conv_fwd_dl_multiple_dINS_32GridwiseGemmDlMultipleD_km_kn_mnILi256EDF16_fNS_5TupleIJDF16_EEEDF16_NS0_12element_wise11PassThroughES8_NS7_7AddReluELNS_25InMemoryDataOperationEnumE0ENS_16TensorDescriptorINS5_IJNS_5EmbedINS5_IJiiiiEEESD_Lb0EEENS_11PassThroughIiEENS_3PadIiiiLb0EEESI_SG_SG_NSC_INS5_IJiiEEESJ_Lb0EEESK_SG_NS_23Merge_v2_magic_divisionINS5_IJiiiEEEEESN_NS_8RightPadIiiLb0EEESP_NS_7UnMergeISJ_Lb0EEESG_EEENS5_IJNS_8SequenceIJLi0EEEENST_IJLi1EEEENST_IJLi2EEEENST_IJLi3EEEENST_IJLi4EEEENST_IJLi5EEEENST_IJLi6EEEENST_IJLi7EEEENST_IJLi8EEEENST_IJLi9ELi11ELi13EEEENST_IJLi10ELi12ELi14EEEENST_IJLi15EEEENST_IJLi16EEEENST_IJLi18EEEENST_IJLi17EEEEEEENS5_IJNST_IJLi1ELi2ELi3ELi4EEEESZ_S10_S11_S12_NST_IJLi9EEEENST_IJLi10ELi11EEEENST_IJLi12ELi13EEEENST_IJLi14EEEES15_S16_S18_S17_NST_IJLi19ELi20EEEENST_IJLi21EEEEEEENST_IJLi19ELi21ELi20EEEElEENSB_INS5_IJSR_SP_SP_SR_SG_EEENS5_IJSU_SV_SW_SY_SX_EEENS5_IJNST_IJLi1ELi2EEEESX_SY_NST_IJLi5ELi6EEEES11_EEENST_IJLi5ELi7ELi6EEEElEENSB_INS5_IJSK_SP_SP_EEENS5_IJSU_SV_SW_EEENS5_IJS1M_SX_SY_EEENST_IJLi3ELi4EEEElEELi128ELi128ELi16ELi2ELi4ELi4ELi1ENST_IJLi8ELi2EEEES1W_NST_IJLi8ELi1ELi1ELi2EEEENST_IJLi2ELi1ELi128ELi1EEEENST_IJLi1ELi2ELi0ELi3EEEES1Z_NST_IJLi4ELi1ELi1ELi2EEEES1Z_NST_IJLi1ELi1ELi1ELi2EEEES1X_S1Y_S1Z_S1Z_S20_S1Z_S21_NST_IJLi0ELi1ELi2ELi3ELi4ELi5EEEELi5ELi4EEEDF16_NS5_IJPKDF16_EEEDF16_S8_S8_S9_NSB_INS5_IJSE_SG_SI_SI_SG_SG_SK_SK_SG_SN_SN_SP_SP_SR_SG_SG_NSQ_INS5_IJiNS_17integral_constantIiLi128EEEEEELb0EEENSF_INS27_IiLi2EEEEEEEENS5_IJSU_SV_SW_SX_SY_SZ_S10_S11_S12_S13_S14_S15_S16_S17_S18_NST_IJLi19EEEES1G_NST_IJLi20EEEEEEENS5_IJS1A_SZ_S10_S11_S12_S1B_S1C_S1D_S1E_S15_S16_S18_S17_S1F_S1G_NST_IJLi22EEEENST_IJLi23ELi24EEEENST_IJLi25EEEEEEENST_IJLi22ELi23ELi24ELi25EEEElEENSB_INS5_IJSR_SP_SP_SR_SG_SG_S2A_S2C_EEENS5_IJSU_SV_SW_SY_SX_SZ_S11_S10_EEENS5_IJS1M_SX_SY_S1N_S11_S12_NST_IJLi9ELi10EEEENST_IJLi11EEEEEEENST_IJLi8ELi9ELi10ELi11EEEElEENS5_IJNSB_INS5_IJSK_SP_SP_NSQ_INS5_IJiS2B_NS27_IiLi64EEEEEELb0EEES2W_EEENS5_IJSU_SV_SW_SX_SY_EEENS5_IJS1M_SX_SY_NST_IJLi5ELi6ELi7EEEENST_IJLi8ELi9ELi10EEEEEEENST_IJLi5ELi6ELi7ELi8ELi9ELi10EEEElEEEEES33_NS_31BlockToCTileMap_M00_N00_M01_N01ILi128ELi128ES1V_Lb0EEENS1_30ComputePtrOffsetOfStridedBatchILi1ELi1ELi1EvEELb1ELb1EEEvPKT0_S3B_T1_PT2_T3_T4_T5_iT6_T7_T8_T9_T10_T11_,comdat
	.globl	_ZN2ck16tensor_operation6device12_GLOBAL__N_137kernel_grouped_conv_fwd_dl_multiple_dINS_32GridwiseGemmDlMultipleD_km_kn_mnILi256EDF16_fNS_5TupleIJDF16_EEEDF16_NS0_12element_wise11PassThroughES8_NS7_7AddReluELNS_25InMemoryDataOperationEnumE0ENS_16TensorDescriptorINS5_IJNS_5EmbedINS5_IJiiiiEEESD_Lb0EEENS_11PassThroughIiEENS_3PadIiiiLb0EEESI_SG_SG_NSC_INS5_IJiiEEESJ_Lb0EEESK_SG_NS_23Merge_v2_magic_divisionINS5_IJiiiEEEEESN_NS_8RightPadIiiLb0EEESP_NS_7UnMergeISJ_Lb0EEESG_EEENS5_IJNS_8SequenceIJLi0EEEENST_IJLi1EEEENST_IJLi2EEEENST_IJLi3EEEENST_IJLi4EEEENST_IJLi5EEEENST_IJLi6EEEENST_IJLi7EEEENST_IJLi8EEEENST_IJLi9ELi11ELi13EEEENST_IJLi10ELi12ELi14EEEENST_IJLi15EEEENST_IJLi16EEEENST_IJLi18EEEENST_IJLi17EEEEEEENS5_IJNST_IJLi1ELi2ELi3ELi4EEEESZ_S10_S11_S12_NST_IJLi9EEEENST_IJLi10ELi11EEEENST_IJLi12ELi13EEEENST_IJLi14EEEES15_S16_S18_S17_NST_IJLi19ELi20EEEENST_IJLi21EEEEEEENST_IJLi19ELi21ELi20EEEElEENSB_INS5_IJSR_SP_SP_SR_SG_EEENS5_IJSU_SV_SW_SY_SX_EEENS5_IJNST_IJLi1ELi2EEEESX_SY_NST_IJLi5ELi6EEEES11_EEENST_IJLi5ELi7ELi6EEEElEENSB_INS5_IJSK_SP_SP_EEENS5_IJSU_SV_SW_EEENS5_IJS1M_SX_SY_EEENST_IJLi3ELi4EEEElEELi128ELi128ELi16ELi2ELi4ELi4ELi1ENST_IJLi8ELi2EEEES1W_NST_IJLi8ELi1ELi1ELi2EEEENST_IJLi2ELi1ELi128ELi1EEEENST_IJLi1ELi2ELi0ELi3EEEES1Z_NST_IJLi4ELi1ELi1ELi2EEEES1Z_NST_IJLi1ELi1ELi1ELi2EEEES1X_S1Y_S1Z_S1Z_S20_S1Z_S21_NST_IJLi0ELi1ELi2ELi3ELi4ELi5EEEELi5ELi4EEEDF16_NS5_IJPKDF16_EEEDF16_S8_S8_S9_NSB_INS5_IJSE_SG_SI_SI_SG_SG_SK_SK_SG_SN_SN_SP_SP_SR_SG_SG_NSQ_INS5_IJiNS_17integral_constantIiLi128EEEEEELb0EEENSF_INS27_IiLi2EEEEEEEENS5_IJSU_SV_SW_SX_SY_SZ_S10_S11_S12_S13_S14_S15_S16_S17_S18_NST_IJLi19EEEES1G_NST_IJLi20EEEEEEENS5_IJS1A_SZ_S10_S11_S12_S1B_S1C_S1D_S1E_S15_S16_S18_S17_S1F_S1G_NST_IJLi22EEEENST_IJLi23ELi24EEEENST_IJLi25EEEEEEENST_IJLi22ELi23ELi24ELi25EEEElEENSB_INS5_IJSR_SP_SP_SR_SG_SG_S2A_S2C_EEENS5_IJSU_SV_SW_SY_SX_SZ_S11_S10_EEENS5_IJS1M_SX_SY_S1N_S11_S12_NST_IJLi9ELi10EEEENST_IJLi11EEEEEEENST_IJLi8ELi9ELi10ELi11EEEElEENS5_IJNSB_INS5_IJSK_SP_SP_NSQ_INS5_IJiS2B_NS27_IiLi64EEEEEELb0EEES2W_EEENS5_IJSU_SV_SW_SX_SY_EEENS5_IJS1M_SX_SY_NST_IJLi5ELi6ELi7EEEENST_IJLi8ELi9ELi10EEEEEEENST_IJLi5ELi6ELi7ELi8ELi9ELi10EEEElEEEEES33_NS_31BlockToCTileMap_M00_N00_M01_N01ILi128ELi128ES1V_Lb0EEENS1_30ComputePtrOffsetOfStridedBatchILi1ELi1ELi1EvEELb1ELb1EEEvPKT0_S3B_T1_PT2_T3_T4_T5_iT6_T7_T8_T9_T10_T11_ ; -- Begin function _ZN2ck16tensor_operation6device12_GLOBAL__N_137kernel_grouped_conv_fwd_dl_multiple_dINS_32GridwiseGemmDlMultipleD_km_kn_mnILi256EDF16_fNS_5TupleIJDF16_EEEDF16_NS0_12element_wise11PassThroughES8_NS7_7AddReluELNS_25InMemoryDataOperationEnumE0ENS_16TensorDescriptorINS5_IJNS_5EmbedINS5_IJiiiiEEESD_Lb0EEENS_11PassThroughIiEENS_3PadIiiiLb0EEESI_SG_SG_NSC_INS5_IJiiEEESJ_Lb0EEESK_SG_NS_23Merge_v2_magic_divisionINS5_IJiiiEEEEESN_NS_8RightPadIiiLb0EEESP_NS_7UnMergeISJ_Lb0EEESG_EEENS5_IJNS_8SequenceIJLi0EEEENST_IJLi1EEEENST_IJLi2EEEENST_IJLi3EEEENST_IJLi4EEEENST_IJLi5EEEENST_IJLi6EEEENST_IJLi7EEEENST_IJLi8EEEENST_IJLi9ELi11ELi13EEEENST_IJLi10ELi12ELi14EEEENST_IJLi15EEEENST_IJLi16EEEENST_IJLi18EEEENST_IJLi17EEEEEEENS5_IJNST_IJLi1ELi2ELi3ELi4EEEESZ_S10_S11_S12_NST_IJLi9EEEENST_IJLi10ELi11EEEENST_IJLi12ELi13EEEENST_IJLi14EEEES15_S16_S18_S17_NST_IJLi19ELi20EEEENST_IJLi21EEEEEEENST_IJLi19ELi21ELi20EEEElEENSB_INS5_IJSR_SP_SP_SR_SG_EEENS5_IJSU_SV_SW_SY_SX_EEENS5_IJNST_IJLi1ELi2EEEESX_SY_NST_IJLi5ELi6EEEES11_EEENST_IJLi5ELi7ELi6EEEElEENSB_INS5_IJSK_SP_SP_EEENS5_IJSU_SV_SW_EEENS5_IJS1M_SX_SY_EEENST_IJLi3ELi4EEEElEELi128ELi128ELi16ELi2ELi4ELi4ELi1ENST_IJLi8ELi2EEEES1W_NST_IJLi8ELi1ELi1ELi2EEEENST_IJLi2ELi1ELi128ELi1EEEENST_IJLi1ELi2ELi0ELi3EEEES1Z_NST_IJLi4ELi1ELi1ELi2EEEES1Z_NST_IJLi1ELi1ELi1ELi2EEEES1X_S1Y_S1Z_S1Z_S20_S1Z_S21_NST_IJLi0ELi1ELi2ELi3ELi4ELi5EEEELi5ELi4EEEDF16_NS5_IJPKDF16_EEEDF16_S8_S8_S9_NSB_INS5_IJSE_SG_SI_SI_SG_SG_SK_SK_SG_SN_SN_SP_SP_SR_SG_SG_NSQ_INS5_IJiNS_17integral_constantIiLi128EEEEEELb0EEENSF_INS27_IiLi2EEEEEEEENS5_IJSU_SV_SW_SX_SY_SZ_S10_S11_S12_S13_S14_S15_S16_S17_S18_NST_IJLi19EEEES1G_NST_IJLi20EEEEEEENS5_IJS1A_SZ_S10_S11_S12_S1B_S1C_S1D_S1E_S15_S16_S18_S17_S1F_S1G_NST_IJLi22EEEENST_IJLi23ELi24EEEENST_IJLi25EEEEEEENST_IJLi22ELi23ELi24ELi25EEEElEENSB_INS5_IJSR_SP_SP_SR_SG_SG_S2A_S2C_EEENS5_IJSU_SV_SW_SY_SX_SZ_S11_S10_EEENS5_IJS1M_SX_SY_S1N_S11_S12_NST_IJLi9ELi10EEEENST_IJLi11EEEEEEENST_IJLi8ELi9ELi10ELi11EEEElEENS5_IJNSB_INS5_IJSK_SP_SP_NSQ_INS5_IJiS2B_NS27_IiLi64EEEEEELb0EEES2W_EEENS5_IJSU_SV_SW_SX_SY_EEENS5_IJS1M_SX_SY_NST_IJLi5ELi6ELi7EEEENST_IJLi8ELi9ELi10EEEEEEENST_IJLi5ELi6ELi7ELi8ELi9ELi10EEEElEEEEES33_NS_31BlockToCTileMap_M00_N00_M01_N01ILi128ELi128ES1V_Lb0EEENS1_30ComputePtrOffsetOfStridedBatchILi1ELi1ELi1EvEELb1ELb1EEEvPKT0_S3B_T1_PT2_T3_T4_T5_iT6_T7_T8_T9_T10_T11_
	.p2align	8
	.type	_ZN2ck16tensor_operation6device12_GLOBAL__N_137kernel_grouped_conv_fwd_dl_multiple_dINS_32GridwiseGemmDlMultipleD_km_kn_mnILi256EDF16_fNS_5TupleIJDF16_EEEDF16_NS0_12element_wise11PassThroughES8_NS7_7AddReluELNS_25InMemoryDataOperationEnumE0ENS_16TensorDescriptorINS5_IJNS_5EmbedINS5_IJiiiiEEESD_Lb0EEENS_11PassThroughIiEENS_3PadIiiiLb0EEESI_SG_SG_NSC_INS5_IJiiEEESJ_Lb0EEESK_SG_NS_23Merge_v2_magic_divisionINS5_IJiiiEEEEESN_NS_8RightPadIiiLb0EEESP_NS_7UnMergeISJ_Lb0EEESG_EEENS5_IJNS_8SequenceIJLi0EEEENST_IJLi1EEEENST_IJLi2EEEENST_IJLi3EEEENST_IJLi4EEEENST_IJLi5EEEENST_IJLi6EEEENST_IJLi7EEEENST_IJLi8EEEENST_IJLi9ELi11ELi13EEEENST_IJLi10ELi12ELi14EEEENST_IJLi15EEEENST_IJLi16EEEENST_IJLi18EEEENST_IJLi17EEEEEEENS5_IJNST_IJLi1ELi2ELi3ELi4EEEESZ_S10_S11_S12_NST_IJLi9EEEENST_IJLi10ELi11EEEENST_IJLi12ELi13EEEENST_IJLi14EEEES15_S16_S18_S17_NST_IJLi19ELi20EEEENST_IJLi21EEEEEEENST_IJLi19ELi21ELi20EEEElEENSB_INS5_IJSR_SP_SP_SR_SG_EEENS5_IJSU_SV_SW_SY_SX_EEENS5_IJNST_IJLi1ELi2EEEESX_SY_NST_IJLi5ELi6EEEES11_EEENST_IJLi5ELi7ELi6EEEElEENSB_INS5_IJSK_SP_SP_EEENS5_IJSU_SV_SW_EEENS5_IJS1M_SX_SY_EEENST_IJLi3ELi4EEEElEELi128ELi128ELi16ELi2ELi4ELi4ELi1ENST_IJLi8ELi2EEEES1W_NST_IJLi8ELi1ELi1ELi2EEEENST_IJLi2ELi1ELi128ELi1EEEENST_IJLi1ELi2ELi0ELi3EEEES1Z_NST_IJLi4ELi1ELi1ELi2EEEES1Z_NST_IJLi1ELi1ELi1ELi2EEEES1X_S1Y_S1Z_S1Z_S20_S1Z_S21_NST_IJLi0ELi1ELi2ELi3ELi4ELi5EEEELi5ELi4EEEDF16_NS5_IJPKDF16_EEEDF16_S8_S8_S9_NSB_INS5_IJSE_SG_SI_SI_SG_SG_SK_SK_SG_SN_SN_SP_SP_SR_SG_SG_NSQ_INS5_IJiNS_17integral_constantIiLi128EEEEEELb0EEENSF_INS27_IiLi2EEEEEEEENS5_IJSU_SV_SW_SX_SY_SZ_S10_S11_S12_S13_S14_S15_S16_S17_S18_NST_IJLi19EEEES1G_NST_IJLi20EEEEEEENS5_IJS1A_SZ_S10_S11_S12_S1B_S1C_S1D_S1E_S15_S16_S18_S17_S1F_S1G_NST_IJLi22EEEENST_IJLi23ELi24EEEENST_IJLi25EEEEEEENST_IJLi22ELi23ELi24ELi25EEEElEENSB_INS5_IJSR_SP_SP_SR_SG_SG_S2A_S2C_EEENS5_IJSU_SV_SW_SY_SX_SZ_S11_S10_EEENS5_IJS1M_SX_SY_S1N_S11_S12_NST_IJLi9ELi10EEEENST_IJLi11EEEEEEENST_IJLi8ELi9ELi10ELi11EEEElEENS5_IJNSB_INS5_IJSK_SP_SP_NSQ_INS5_IJiS2B_NS27_IiLi64EEEEEELb0EEES2W_EEENS5_IJSU_SV_SW_SX_SY_EEENS5_IJS1M_SX_SY_NST_IJLi5ELi6ELi7EEEENST_IJLi8ELi9ELi10EEEEEEENST_IJLi5ELi6ELi7ELi8ELi9ELi10EEEElEEEEES33_NS_31BlockToCTileMap_M00_N00_M01_N01ILi128ELi128ES1V_Lb0EEENS1_30ComputePtrOffsetOfStridedBatchILi1ELi1ELi1EvEELb1ELb1EEEvPKT0_S3B_T1_PT2_T3_T4_T5_iT6_T7_T8_T9_T10_T11_,@function
_ZN2ck16tensor_operation6device12_GLOBAL__N_137kernel_grouped_conv_fwd_dl_multiple_dINS_32GridwiseGemmDlMultipleD_km_kn_mnILi256EDF16_fNS_5TupleIJDF16_EEEDF16_NS0_12element_wise11PassThroughES8_NS7_7AddReluELNS_25InMemoryDataOperationEnumE0ENS_16TensorDescriptorINS5_IJNS_5EmbedINS5_IJiiiiEEESD_Lb0EEENS_11PassThroughIiEENS_3PadIiiiLb0EEESI_SG_SG_NSC_INS5_IJiiEEESJ_Lb0EEESK_SG_NS_23Merge_v2_magic_divisionINS5_IJiiiEEEEESN_NS_8RightPadIiiLb0EEESP_NS_7UnMergeISJ_Lb0EEESG_EEENS5_IJNS_8SequenceIJLi0EEEENST_IJLi1EEEENST_IJLi2EEEENST_IJLi3EEEENST_IJLi4EEEENST_IJLi5EEEENST_IJLi6EEEENST_IJLi7EEEENST_IJLi8EEEENST_IJLi9ELi11ELi13EEEENST_IJLi10ELi12ELi14EEEENST_IJLi15EEEENST_IJLi16EEEENST_IJLi18EEEENST_IJLi17EEEEEEENS5_IJNST_IJLi1ELi2ELi3ELi4EEEESZ_S10_S11_S12_NST_IJLi9EEEENST_IJLi10ELi11EEEENST_IJLi12ELi13EEEENST_IJLi14EEEES15_S16_S18_S17_NST_IJLi19ELi20EEEENST_IJLi21EEEEEEENST_IJLi19ELi21ELi20EEEElEENSB_INS5_IJSR_SP_SP_SR_SG_EEENS5_IJSU_SV_SW_SY_SX_EEENS5_IJNST_IJLi1ELi2EEEESX_SY_NST_IJLi5ELi6EEEES11_EEENST_IJLi5ELi7ELi6EEEElEENSB_INS5_IJSK_SP_SP_EEENS5_IJSU_SV_SW_EEENS5_IJS1M_SX_SY_EEENST_IJLi3ELi4EEEElEELi128ELi128ELi16ELi2ELi4ELi4ELi1ENST_IJLi8ELi2EEEES1W_NST_IJLi8ELi1ELi1ELi2EEEENST_IJLi2ELi1ELi128ELi1EEEENST_IJLi1ELi2ELi0ELi3EEEES1Z_NST_IJLi4ELi1ELi1ELi2EEEES1Z_NST_IJLi1ELi1ELi1ELi2EEEES1X_S1Y_S1Z_S1Z_S20_S1Z_S21_NST_IJLi0ELi1ELi2ELi3ELi4ELi5EEEELi5ELi4EEEDF16_NS5_IJPKDF16_EEEDF16_S8_S8_S9_NSB_INS5_IJSE_SG_SI_SI_SG_SG_SK_SK_SG_SN_SN_SP_SP_SR_SG_SG_NSQ_INS5_IJiNS_17integral_constantIiLi128EEEEEELb0EEENSF_INS27_IiLi2EEEEEEEENS5_IJSU_SV_SW_SX_SY_SZ_S10_S11_S12_S13_S14_S15_S16_S17_S18_NST_IJLi19EEEES1G_NST_IJLi20EEEEEEENS5_IJS1A_SZ_S10_S11_S12_S1B_S1C_S1D_S1E_S15_S16_S18_S17_S1F_S1G_NST_IJLi22EEEENST_IJLi23ELi24EEEENST_IJLi25EEEEEEENST_IJLi22ELi23ELi24ELi25EEEElEENSB_INS5_IJSR_SP_SP_SR_SG_SG_S2A_S2C_EEENS5_IJSU_SV_SW_SY_SX_SZ_S11_S10_EEENS5_IJS1M_SX_SY_S1N_S11_S12_NST_IJLi9ELi10EEEENST_IJLi11EEEEEEENST_IJLi8ELi9ELi10ELi11EEEElEENS5_IJNSB_INS5_IJSK_SP_SP_NSQ_INS5_IJiS2B_NS27_IiLi64EEEEEELb0EEES2W_EEENS5_IJSU_SV_SW_SX_SY_EEENS5_IJS1M_SX_SY_NST_IJLi5ELi6ELi7EEEENST_IJLi8ELi9ELi10EEEEEEENST_IJLi5ELi6ELi7ELi8ELi9ELi10EEEElEEEEES33_NS_31BlockToCTileMap_M00_N00_M01_N01ILi128ELi128ES1V_Lb0EEENS1_30ComputePtrOffsetOfStridedBatchILi1ELi1ELi1EvEELb1ELb1EEEvPKT0_S3B_T1_PT2_T3_T4_T5_iT6_T7_T8_T9_T10_T11_: ; @_ZN2ck16tensor_operation6device12_GLOBAL__N_137kernel_grouped_conv_fwd_dl_multiple_dINS_32GridwiseGemmDlMultipleD_km_kn_mnILi256EDF16_fNS_5TupleIJDF16_EEEDF16_NS0_12element_wise11PassThroughES8_NS7_7AddReluELNS_25InMemoryDataOperationEnumE0ENS_16TensorDescriptorINS5_IJNS_5EmbedINS5_IJiiiiEEESD_Lb0EEENS_11PassThroughIiEENS_3PadIiiiLb0EEESI_SG_SG_NSC_INS5_IJiiEEESJ_Lb0EEESK_SG_NS_23Merge_v2_magic_divisionINS5_IJiiiEEEEESN_NS_8RightPadIiiLb0EEESP_NS_7UnMergeISJ_Lb0EEESG_EEENS5_IJNS_8SequenceIJLi0EEEENST_IJLi1EEEENST_IJLi2EEEENST_IJLi3EEEENST_IJLi4EEEENST_IJLi5EEEENST_IJLi6EEEENST_IJLi7EEEENST_IJLi8EEEENST_IJLi9ELi11ELi13EEEENST_IJLi10ELi12ELi14EEEENST_IJLi15EEEENST_IJLi16EEEENST_IJLi18EEEENST_IJLi17EEEEEEENS5_IJNST_IJLi1ELi2ELi3ELi4EEEESZ_S10_S11_S12_NST_IJLi9EEEENST_IJLi10ELi11EEEENST_IJLi12ELi13EEEENST_IJLi14EEEES15_S16_S18_S17_NST_IJLi19ELi20EEEENST_IJLi21EEEEEEENST_IJLi19ELi21ELi20EEEElEENSB_INS5_IJSR_SP_SP_SR_SG_EEENS5_IJSU_SV_SW_SY_SX_EEENS5_IJNST_IJLi1ELi2EEEESX_SY_NST_IJLi5ELi6EEEES11_EEENST_IJLi5ELi7ELi6EEEElEENSB_INS5_IJSK_SP_SP_EEENS5_IJSU_SV_SW_EEENS5_IJS1M_SX_SY_EEENST_IJLi3ELi4EEEElEELi128ELi128ELi16ELi2ELi4ELi4ELi1ENST_IJLi8ELi2EEEES1W_NST_IJLi8ELi1ELi1ELi2EEEENST_IJLi2ELi1ELi128ELi1EEEENST_IJLi1ELi2ELi0ELi3EEEES1Z_NST_IJLi4ELi1ELi1ELi2EEEES1Z_NST_IJLi1ELi1ELi1ELi2EEEES1X_S1Y_S1Z_S1Z_S20_S1Z_S21_NST_IJLi0ELi1ELi2ELi3ELi4ELi5EEEELi5ELi4EEEDF16_NS5_IJPKDF16_EEEDF16_S8_S8_S9_NSB_INS5_IJSE_SG_SI_SI_SG_SG_SK_SK_SG_SN_SN_SP_SP_SR_SG_SG_NSQ_INS5_IJiNS_17integral_constantIiLi128EEEEEELb0EEENSF_INS27_IiLi2EEEEEEEENS5_IJSU_SV_SW_SX_SY_SZ_S10_S11_S12_S13_S14_S15_S16_S17_S18_NST_IJLi19EEEES1G_NST_IJLi20EEEEEEENS5_IJS1A_SZ_S10_S11_S12_S1B_S1C_S1D_S1E_S15_S16_S18_S17_S1F_S1G_NST_IJLi22EEEENST_IJLi23ELi24EEEENST_IJLi25EEEEEEENST_IJLi22ELi23ELi24ELi25EEEElEENSB_INS5_IJSR_SP_SP_SR_SG_SG_S2A_S2C_EEENS5_IJSU_SV_SW_SY_SX_SZ_S11_S10_EEENS5_IJS1M_SX_SY_S1N_S11_S12_NST_IJLi9ELi10EEEENST_IJLi11EEEEEEENST_IJLi8ELi9ELi10ELi11EEEElEENS5_IJNSB_INS5_IJSK_SP_SP_NSQ_INS5_IJiS2B_NS27_IiLi64EEEEEELb0EEES2W_EEENS5_IJSU_SV_SW_SX_SY_EEENS5_IJS1M_SX_SY_NST_IJLi5ELi6ELi7EEEENST_IJLi8ELi9ELi10EEEEEEENST_IJLi5ELi6ELi7ELi8ELi9ELi10EEEElEEEEES33_NS_31BlockToCTileMap_M00_N00_M01_N01ILi128ELi128ES1V_Lb0EEENS1_30ComputePtrOffsetOfStridedBatchILi1ELi1ELi1EvEELb1ELb1EEEvPKT0_S3B_T1_PT2_T3_T4_T5_iT6_T7_T8_T9_T10_T11_
; %bb.0:
	s_clause 0x6
	s_load_dword s0, s[4:5], 0x24
	s_load_dwordx4 s[20:23], s[4:5], 0x38
	s_load_dword s2, s[4:5], 0x2c8
	s_load_dwordx8 s[12:19], s[4:5], 0x2a0
	s_load_dwordx2 s[46:47], s[4:5], 0xc8
	s_load_dword s57, s[4:5], 0x254
	s_load_dwordx2 s[34:35], s[4:5], 0xa0
	v_lshrrev_b32_e32 v21, 1, v0
	v_lshlrev_b32_e32 v27, 1, v0
	v_mov_b32_e32 v75, 0
	v_mov_b32_e32 v55, 0
	;; [unrolled: 1-line block ×4, first 2 shown]
	v_and_b32_e32 v29, 0x1f8, v27
	v_mov_b32_e32 v77, 0
	v_mov_b32_e32 v53, 0
	;; [unrolled: 1-line block ×6, first 2 shown]
	s_waitcnt lgkmcnt(0)
	s_abs_i32 s1, s0
	v_mov_b32_e32 v50, 0
	v_cvt_f32_u32_e32 v1, s1
	s_sub_i32 s7, 0, s1
	s_abs_i32 s8, s2
	s_xor_b32 s0, s2, s0
	v_mov_b32_e32 v83, 0
	v_rcp_iflag_f32_e32 v1, v1
	s_ashr_i32 s0, s0, 31
	v_mov_b32_e32 v85, 0
	v_mov_b32_e32 v51, 0
	;; [unrolled: 1-line block ×8, first 2 shown]
	v_mul_f32_e32 v1, 0x4f7ffffe, v1
	v_mov_b32_e32 v90, 0
	v_mov_b32_e32 v45, 0
	;; [unrolled: 1-line block ×4, first 2 shown]
	v_cvt_u32_f32_e32 v1, v1
	v_mov_b32_e32 v92, 0
	v_mov_b32_e32 v64, 0
	;; [unrolled: 1-line block ×4, first 2 shown]
	v_readfirstlane_b32 s3, v1
	v_mov_b32_e32 v94, 0
	v_mov_b32_e32 v61, 0
	;; [unrolled: 1-line block ×4, first 2 shown]
	s_mul_i32 s7, s7, s3
	v_mov_b32_e32 v96, 0
	s_mul_hi_u32 s7, s3, s7
	v_mov_b32_e32 v66, 0
	s_add_i32 s3, s3, s7
	v_mov_b32_e32 v65, 0
	s_mul_hi_u32 s3, s8, s3
	v_mov_b32_e32 v97, 0
	s_mul_i32 s2, s3, s1
	s_add_i32 s7, s3, 1
	s_sub_i32 s2, s8, s2
	v_mov_b32_e32 v98, 0
	s_sub_i32 s8, s2, s1
	s_cmp_ge_u32 s2, s1
	v_mov_b32_e32 v67, 0
	s_cselect_b32 s3, s7, s3
	s_cselect_b32 s2, s8, s2
	s_add_i32 s7, s3, 1
	s_cmp_ge_u32 s2, s1
	v_mov_b32_e32 v68, 0
	s_cselect_b32 s1, s7, s3
	s_abs_i32 s11, s6
	s_xor_b32 s1, s1, s0
	v_mov_b32_e32 v99, 0
	s_sub_i32 s7, s1, s0
	s_clause 0x1
	s_load_dwordx4 s[0:3], s[4:5], 0x0
	s_load_dwordx2 s[44:45], s[4:5], 0x18
	s_abs_i32 s8, s7
	s_xor_b32 s7, s6, s7
	v_cvt_f32_u32_e32 v1, s8
	s_sub_i32 s10, 0, s8
	s_ashr_i32 s24, s7, 31
	v_mov_b32_e32 v100, 0
	v_mov_b32_e32 v72, 0
	v_rcp_iflag_f32_e32 v1, v1
	v_mov_b32_e32 v71, 0
	v_mov_b32_e32 v101, 0
	;; [unrolled: 1-line block ×9, first 2 shown]
	v_mul_f32_e32 v1, 0x4f7ffffe, v1
	v_mov_b32_e32 v105, 0
	v_mov_b32_e32 v106, 0
	;; [unrolled: 1-line block ×4, first 2 shown]
	v_cvt_u32_f32_e32 v1, v1
	v_mov_b32_e32 v107, 0
	v_mov_b32_e32 v108, 0
	;; [unrolled: 1-line block ×4, first 2 shown]
	v_readfirstlane_b32 s9, v1
	v_lshlrev_b32_e32 v1, 3, v0
	v_mov_b32_e32 v60, 0
	v_mov_b32_e32 v84, 0
	;; [unrolled: 1-line block ×3, first 2 shown]
	s_mul_i32 s10, s10, s9
	v_and_b32_e32 v24, 8, v1
	s_mul_hi_u32 s10, s9, s10
	v_mov_b32_e32 v57, 0
	s_add_i32 s9, s9, s10
	v_mov_b32_e32 v58, 0
	s_mul_hi_u32 s9, s11, s9
	v_or_b32_e32 v1, 4, v24
	s_mul_i32 s10, s9, s8
	v_or_b32_e32 v32, 16, v24
	s_sub_i32 s7, s11, s10
	s_add_i32 s10, s9, 1
	s_sub_i32 s11, s7, s8
	s_cmp_ge_u32 s7, s8
	s_mov_b32 s68, 0
	s_cselect_b32 s9, s10, s9
	s_cselect_b32 s7, s11, s7
	s_add_i32 s10, s9, 1
	s_cmp_ge_u32 s7, s8
	s_clause 0x5
	s_load_dword s63, s[4:5], 0x100
	s_load_dword s65, s[4:5], 0x10c
	;; [unrolled: 1-line block ×6, first 2 shown]
	s_cselect_b32 s8, s10, s9
	s_xor_b32 s27, s8, s24
	s_clause 0x1
	s_load_dwordx4 s[36:39], s[4:5], 0x274
	s_load_dwordx4 s[8:11], s[4:5], 0x288
	s_sub_i32 s62, s27, s24
	s_ashr_i32 s64, s62, 31
	s_mul_hi_u32 s24, s12, s62
	s_mul_i32 s30, s15, s62
	s_mul_i32 s15, s12, s64
	;; [unrolled: 1-line block ×3, first 2 shown]
	s_add_i32 s15, s24, s15
	s_mul_i32 s28, s12, s62
	s_mul_hi_u32 s27, s14, s62
	s_mul_i32 s12, s14, s62
	s_mul_i32 s14, s14, s64
	s_add_i32 s29, s15, s13
	s_add_i32 s13, s27, s14
	s_lshl_b64 s[14:15], s[28:29], 1
	s_add_i32 s13, s13, s30
	s_waitcnt lgkmcnt(0)
	s_add_u32 s24, s0, s14
	s_addc_u32 s42, s1, s15
	s_lshl_b64 s[0:1], s[12:13], 1
	s_mul_hi_u32 s12, s39, s6
	s_add_u32 s28, s2, s0
	s_addc_u32 s29, s3, s1
	s_add_i32 s12, s6, s12
	s_clause 0x1
	s_load_dword s13, s[4:5], 0x244
	s_load_dwordx4 s[0:3], s[4:5], 0x260
	s_lshr_b32 s43, s12, s11
	v_mul_lo_u32 v25, s63, v1
	s_mul_hi_u32 s11, s43, s38
	s_clause 0x2
	s_load_dwordx2 s[30:31], s[4:5], 0xac
	s_load_dwordx2 s[48:49], s[4:5], 0xbc
	;; [unrolled: 1-line block ×3, first 2 shown]
	s_add_i32 s11, s43, s11
	v_mul_lo_u32 v20, s63, v24
	s_lshr_b32 s38, s11, s10
	s_mov_b32 s27, 0x31014000
	s_mul_hi_u32 s10, s38, s37
	v_mul_hi_u32 v2, v25, s47
	s_add_i32 s10, s38, s10
	s_and_b32 s29, s29, 0xffff
	s_lshr_b32 s61, s10, s9
	v_mul_hi_u32 v1, v20, s47
	s_mul_hi_u32 s9, s61, s36
	s_clause 0x2
	s_load_dwordx2 s[52:53], s[4:5], 0x74
	s_load_dwordx2 s[54:55], s[4:5], 0x84
	;; [unrolled: 1-line block ×3, first 2 shown]
	s_add_i32 s9, s61, s9
	v_add_nc_u32_e32 v2, v25, v2
	s_lshr_b32 s8, s9, s8
	s_mov_b32 s39, s27
	s_waitcnt lgkmcnt(0)
	s_mul_i32 s8, s8, s0
	s_mul_i32 s0, s38, s2
	s_sub_i32 s2, s61, s8
	s_sub_i32 s56, s43, s0
	s_mul_i32 s2, s2, s13
	v_add_nc_u32_e32 v1, v20, v1
	s_add_i32 s56, s56, s2
	v_lshrrev_b32_e32 v2, s51, v2
	v_lshl_or_b32 v22, s56, 7, v21
	s_clause 0x2
	s_load_dword s58, s[4:5], 0x50
	s_load_dwordx4 s[8:11], s[4:5], 0x4c
	s_load_dword s0, s[4:5], 0x160
	v_lshrrev_b32_e32 v1, s51, v1
	s_clause 0x1
	s_load_dword s59, s[4:5], 0x5c
	s_load_dwordx4 s[12:15], s[4:5], 0x58
	v_mul_hi_u32 v4, v2, s46
	v_mul_hi_u32 v5, v22, s35
	v_mul_lo_u32 v7, v2, s49
	v_mul_hi_u32 v3, v1, s46
	v_mul_lo_u32 v6, v1, s49
	s_mul_i32 s61, s61, s1
	s_mul_i32 s43, s43, s3
	s_sub_i32 s1, s38, s61
	v_add_nc_u32_e32 v4, v2, v4
	v_add_nc_u32_e32 v5, v22, v5
	v_sub_nc_u32_e32 v26, v25, v7
	v_add_nc_u32_e32 v3, v1, v3
	s_sub_i32 s3, s6, s43
	v_lshrrev_b32_e32 v116, s50, v4
	v_lshrrev_b32_e32 v4, s31, v5
	v_sub_nc_u32_e32 v5, v20, v6
	v_lshrrev_b32_e32 v3, s50, v3
	s_mul_i32 s1, s1, s57
	v_mul_lo_u32 v7, v116, s48
	v_mul_hi_u32 v8, v4, s34
	v_sub_nc_u32_e32 v9, v26, v5
	v_mul_lo_u32 v6, v3, s48
	s_add_i32 s57, s3, s1
	s_clause 0x1
	s_load_dword s2, s[4:5], 0x188
	s_load_dwordx2 s[40:41], s[4:5], 0x198
	s_waitcnt lgkmcnt(0)
	s_clause 0x1
	s_load_dword s15, s[4:5], 0x1a4
	s_load_dword s33, s[4:5], 0x1b0
	v_lshl_or_b32 v119, s57, 7, v21
	v_mul_lo_u32 v23, s0, v24
	v_sub_nc_u32_e32 v117, v2, v7
	v_add_nc_u32_e32 v7, v4, v8
	v_sub_nc_u32_e32 v8, v116, v3
	v_sub_nc_u32_e32 v6, v1, v6
	v_mul_lo_u32 v1, v3, s52
	v_mul_lo_u32 v2, v9, s23
	v_lshrrev_b32_e32 v7, s30, v7
	v_mul_lo_u32 v115, v8, s52
	v_sub_nc_u32_e32 v9, v117, v6
	v_mul_lo_u32 v3, v6, s54
	v_mul_lo_u32 v6, v4, s37
	;; [unrolled: 1-line block ×6, first 2 shown]
	s_lshl_b32 s38, s2, 1
	s_mov_b32 s36, s28
	v_mad_u64_u32 v[9:10], null, v115, s21, v[2:3]
	v_sub_nc_u32_e32 v6, v22, v6
	v_sub_nc_u32_e32 v4, v4, v8
	v_mul_lo_u32 v10, v114, s22
	s_mov_b32 s37, s29
	s_lshl_b32 s26, s25, 1
	s_and_b32 s25, s42, 0xffff
	v_mad_u64_u32 v[17:18], null, v6, s55, v[3:4]
	v_mad_u64_u32 v[18:19], null, v4, s53, v[1:2]
	v_mul_lo_u32 v1, v5, s23
	v_add_nc_u32_e32 v4, v118, v23
	s_lshl_b32 s55, s0, 2
	v_lshrrev_b32_e32 v19, 5, v0
	v_subrev_nc_u32_e32 v2, s59, v17
	v_lshlrev_b32_e32 v21, 2, v21
	v_subrev_nc_u32_e32 v3, s58, v18
	v_add_lshl_u32 v8, v4, s55, 1
	v_lshlrev_b32_e32 v28, 6, v19
	v_mad_u64_u32 v[5:6], null, v2, s22, v[1:2]
	v_mul_lo_u32 v6, v3, s21
	v_lshlrev_b32_e32 v1, 1, v4
	v_lshlrev_b32_e32 v19, 3, v19
	;; [unrolled: 1-line block ×3, first 2 shown]
	v_sub_nc_u32_e32 v28, v29, v28
	v_lshl_or_b32 v113, v24, 9, v21
	buffer_load_dwordx4 v[1:4], v1, s[36:39], 0 offen
	v_and_or_b32 v112, v27, 4, v19
	v_add3_u32 v11, v5, v7, v6
	buffer_load_dwordx4 v[5:8], v8, s[36:39], 0 offen
	v_or_b32_e32 v19, 36, v24
	v_or_b32_e32 v21, 32, v24
	v_or_b32_e32 v27, 20, v24
	v_add3_u32 v44, v9, v10, v11
	v_lshlrev_b32_e32 v9, 1, v11
	s_sub_i32 s39, s12, s14
	v_and_or_b32 v111, v0, 4, v28
	s_mul_i32 s66, s0, 12
	v_lshlrev_b32_e32 v13, 1, v44
	s_clause 0x1
	buffer_load_dwordx4 v[9:12], v9, s[24:27], 0 offen
	buffer_load_dwordx4 v[13:16], v13, s[24:27], 0 offen
	s_clause 0x2
	s_load_dword s9, s[4:5], 0xe4
	s_load_dword s53, s[4:5], 0xf0
	s_load_dwordx2 s[36:37], s[4:5], 0x228
	v_mul_lo_u32 v28, s0, v19
	v_mul_lo_u32 v29, s0, v21
	;; [unrolled: 1-line block ×4, first 2 shown]
	s_lshl_b32 s70, s0, 5
	s_lshl_b32 s71, s0, 6
	v_cmp_gt_i32_e64 s0, s7, v119
	v_cmp_gt_i32_e64 s7, s39, v17
	v_add_nc_u32_e32 v114, v17, v114
	v_add_nc_u32_e32 v115, v18, v115
	s_clause 0x2
	s_load_dwordx2 s[42:43], s[4:5], 0x1d8
	s_load_dwordx2 s[34:35], s[4:5], 0x1e8
	s_load_dword s20, s[4:5], 0x1f4
	s_waitcnt lgkmcnt(0)
	s_load_dword s37, s[4:5], 0x200
	s_sub_i32 s43, s8, s10
	v_mul_lo_u32 v33, s63, v27
	v_add_nc_u32_e32 v27, s55, v23
	v_cmp_le_i32_e64 s8, s59, v17
	v_cmp_gt_i32_e64 s10, s43, v18
	v_cmp_le_i32_e64 s11, s58, v115
	v_cmp_gt_i32_e32 vcc_lo, s9, v22
	v_cmp_gt_i32_e64 s1, s53, v20
	v_cmp_gt_i32_e64 s2, s53, v25
	v_cmp_le_i32_e64 s9, s58, v18
	v_cmp_gt_i32_e64 s12, s43, v115
	v_cmp_gt_i32_e64 s3, s60, v23
	s_and_b32 s13, s7, s1
	v_cmp_gt_i32_e64 s7, s39, v114
	v_cmp_le_i32_e64 s1, s59, v114
	v_mul_lo_u32 v32, s63, v32
	v_mul_lo_u32 v34, s63, v21
	;; [unrolled: 1-line block ×3, first 2 shown]
	s_and_b32 s2, s7, s2
	v_cmp_gt_i32_e64 s6, s60, v27
	s_and_b32 s7, s13, s8
	s_and_b32 s1, s2, s1
	;; [unrolled: 1-line block ×7, first 2 shown]
	v_lshlrev_b32_e32 v109, 2, v112
	v_lshlrev_b32_e32 v110, 2, v111
	v_lshlrev_b32_e32 v36, 1, v28
	v_lshlrev_b32_e32 v37, 1, v29
	v_lshlrev_b32_e32 v38, 1, v30
	v_lshlrev_b32_e32 v39, 1, v31
	v_mov_b32_e32 v40, v35
	v_mov_b32_e32 v41, v34
	;; [unrolled: 1-line block ×4, first 2 shown]
	v_lshlrev_b32_e32 v119, 1, v118
	s_mov_b32 s61, 0
	s_mov_b32 s31, s27
	s_mul_i32 s67, s63, 12
	s_sub_i32 s69, s65, 32
	s_lshl_b32 s65, s63, 2
	s_lshl_b32 s72, s63, 5
	s_sub_i32 s73, 0, s49
	s_mov_b32 s30, s38
	s_waitcnt vmcnt(3)
	v_cndmask_b32_e64 v2, 0, v2, s1
	v_cndmask_b32_e64 v1, 0, v1, s1
	;; [unrolled: 1-line block ×4, first 2 shown]
	s_and_b32 s1, s6, s0
	ds_write2st64_b32 v113, v1, v2 offset0:64 offset1:66
	ds_write2st64_b32 v113, v3, v0 offset0:68 offset1:70
	s_waitcnt vmcnt(2)
	v_cndmask_b32_e64 v4, 0, v8, s1
	v_cndmask_b32_e64 v7, 0, v7, s1
	;; [unrolled: 1-line block ×4, first 2 shown]
	s_and_b32 s1, vcc_lo, s2
	s_waitcnt vmcnt(1)
	v_cndmask_b32_e64 v0, 0, v12, s1
	v_cndmask_b32_e64 v1, 0, v11, s1
	;; [unrolled: 1-line block ×4, first 2 shown]
	s_and_b32 s1, vcc_lo, s7
	s_waitcnt vmcnt(0)
	v_cndmask_b32_e64 v9, 0, v14, s1
	v_cndmask_b32_e64 v10, 0, v13, s1
	;; [unrolled: 1-line block ×4, first 2 shown]
	ds_write2st64_b32 v113, v5, v6 offset0:72 offset1:74
	ds_write2st64_b32 v113, v3, v2 offset1:2
	ds_write2st64_b32 v113, v1, v0 offset0:4 offset1:6
	ds_write2st64_b32 v113, v10, v9 offset0:8 offset1:10
	;; [unrolled: 1-line block ×4, first 2 shown]
.LBB5_1:                                ; =>This Inner Loop Header: Depth=1
	v_mul_hi_u32 v11, s47, v42
	v_add_nc_u32_e32 v8, s61, v33
	v_mul_hi_u32 v10, s47, v43
	v_add_nc_u32_e32 v12, s61, v32
	;; [unrolled: 2-line block ×4, first 2 shown]
	v_add_nc_u32_e32 v11, v8, v11
	v_cmp_gt_i32_e64 s9, s53, v8
	v_add_nc_u32_e32 v10, v12, v10
	v_cmp_gt_i32_e64 s10, s53, v9
	v_add_nc_u32_e32 v14, v9, v14
	v_lshrrev_b32_e32 v17, s51, v11
	v_add_nc_u32_e32 v15, v13, v15
	v_lshrrev_b32_e32 v16, s51, v10
	v_cmp_gt_i32_e64 s1, s60, v31
	v_lshrrev_b32_e32 v14, s51, v14
	v_mad_u64_u32 v[10:11], null, s73, v17, v[8:9]
	v_mul_hi_u32 v20, v16, s46
	v_lshrrev_b32_e32 v15, s51, v15
	v_mul_hi_u32 v21, v17, s46
	v_mul_lo_u32 v22, s73, v16
	v_cmp_gt_i32_e64 s2, s60, v30
	s_add_i32 s7, s65, s67
	v_mad_u64_u32 v[8:9], null, s73, v14, v[9:10]
	v_mul_hi_u32 v9, v14, s46
	v_mul_lo_u32 v120, s73, v15
	v_mul_hi_u32 v11, v15, s46
	v_add_nc_u32_e32 v20, v16, v20
	v_mul_lo_u32 v23, v15, s49
	v_add_nc_u32_e32 v21, v17, v21
	v_add3_u32 v25, s7, s7, v25
	v_sub_nc_u32_e32 v121, v22, v26
	v_add_nc_u32_e32 v9, v14, v9
	v_lshrrev_b32_e32 v20, s50, v20
	s_add_i32 s8, s55, s66
	s_and_b32 s7, s0, s1
	s_and_b32 s1, s0, s2
	v_cmp_gt_i32_e64 s2, s53, v13
	v_add_nc_u32_e32 v22, v12, v22
	v_sub_nc_u32_e32 v122, v8, v10
	v_add_nc_u32_e32 v13, v13, v120
	v_add_nc_u32_e32 v11, v15, v11
	v_lshrrev_b32_e32 v21, s50, v21
	v_add3_u32 v27, s8, s8, v27
	v_cmp_gt_i32_e64 s8, s53, v12
	v_sub_nc_u32_e32 v26, v25, v23
	v_add_nc_u32_e32 v12, v12, v121
	v_lshrrev_b32_e32 v23, s50, v9
	v_mul_lo_u32 v121, v20, s48
	v_sub_nc_u32_e32 v22, v10, v22
	v_sub_nc_u32_e32 v13, v13, v8
	v_mul_lo_u32 v8, v122, s23
	v_sub_nc_u32_e32 v122, v20, v116
	v_sub_nc_u32_e32 v20, v21, v20
	v_lshrrev_b32_e32 v116, s50, v11
	v_mul_lo_u32 v123, v21, s48
	v_sub_nc_u32_e32 v21, v23, v21
	v_mad_u64_u32 v[9:10], null, v12, s23, v[44:45]
	v_mul_lo_u32 v10, v22, s23
	v_mul_lo_u32 v12, v23, s48
	;; [unrolled: 1-line block ×6, first 2 shown]
	v_sub_nc_u32_e32 v16, v16, v121
	v_mul_lo_u32 v21, v21, s52
	v_sub_nc_u32_e32 v13, v116, v23
	v_sub_nc_u32_e32 v17, v17, v123
	v_sub_nc_u32_e32 v23, v14, v12
	v_sub_nc_u32_e32 v122, v16, v117
	v_mul_lo_u32 v123, v22, s21
	v_mul_lo_u32 v121, v13, s52
	v_mad_u64_u32 v[12:13], null, v20, s21, v[10:11]
	v_add_nc_u32_e32 v10, v22, v115
	v_sub_nc_u32_e32 v117, v15, v44
	v_sub_nc_u32_e32 v16, v17, v16
	v_mad_u64_u32 v[13:14], null, v21, s21, v[8:9]
	v_mul_lo_u32 v8, v122, s54
	v_sub_nc_u32_e32 v17, v23, v17
	v_cmp_le_i32_e64 s11, s58, v10
	v_cmp_gt_i32_e64 s12, s43, v10
	v_add_nc_u32_e32 v10, v20, v10
	v_sub_nc_u32_e32 v20, v117, v23
	v_mul_lo_u32 v14, v16, s54
	v_mul_lo_u32 v15, v17, s54
	v_mad_u64_u32 v[16:17], null, v121, s21, v[11:12]
	v_mul_lo_u32 v11, v20, s54
	v_mul_lo_u32 v20, v8, s22
	s_and_b32 s74, s11, s12
	v_cmp_le_i32_e64 s11, s58, v10
	v_cmp_gt_i32_e64 s12, s43, v10
	v_add_nc_u32_e32 v10, v21, v10
	v_add_nc_u32_e32 v8, v8, v114
	v_mul_lo_u32 v21, v14, s22
	v_mul_lo_u32 v22, v15, s22
	s_and_b32 s75, s11, s12
	v_cmp_le_i32_e64 s11, s58, v10
	v_cmp_gt_i32_e64 s12, s43, v10
	v_add_nc_u32_e32 v115, v121, v10
	v_cmp_gt_i32_e64 s13, s39, v8
	v_add_nc_u32_e32 v10, v14, v8
	v_cmp_le_i32_e64 s14, s59, v8
	v_add3_u32 v8, v9, v123, v20
	v_add_nc_u32_e32 v0, v39, v119
	s_and_b32 s38, s11, s12
	v_cmp_le_i32_e64 s11, s58, v115
	v_cmp_gt_i32_e64 s12, s43, v115
	v_add3_u32 v12, v12, v8, v21
	s_and_b32 s76, s13, s8
	v_cmp_gt_i32_e64 s8, s39, v10
	v_add_nc_u32_e32 v9, v15, v10
	v_lshlrev_b32_e32 v8, 1, v8
	v_lshlrev_b32_e32 v14, 1, v12
	v_add_nc_u32_e32 v1, v38, v119
	s_clause 0x1
	buffer_load_dwordx4 v[4:7], v0, s[28:31], 0 offen
	buffer_load_dwordx4 v[0:3], v1, s[28:31], 0 offen
	v_mul_lo_u32 v17, v11, s22
	v_cmp_le_i32_e64 s13, s59, v10
	s_and_b32 s76, s76, s14
	s_and_b32 s14, s11, s12
	;; [unrolled: 1-line block ×3, first 2 shown]
	v_cmp_gt_i32_e64 s8, s39, v9
	v_cmp_le_i32_e64 s11, s59, v9
	v_add_nc_u32_e32 v114, v11, v9
	buffer_load_dwordx4 v[8:11], v8, s[24:27], 0 offen
	v_add3_u32 v20, v13, v22, v12
	buffer_load_dwordx4 v[12:15], v14, s[24:27], 0 offen
	s_waitcnt lgkmcnt(0)
	s_barrier
	ds_read_b128 v[121:124], v109
	ds_read_b128 v[125:128], v110 offset:16384
	ds_read_b128 v[129:132], v110 offset:16640
	;; [unrolled: 1-line block ×5, first 2 shown]
	v_add_nc_u32_e32 v18, v37, v119
	v_add_nc_u32_e32 v19, v36, v119
	v_add3_u32 v44, v16, v17, v20
	s_and_b32 s9, s9, s13
	s_and_b32 s12, s74, s76
	;; [unrolled: 1-line block ×4, first 2 shown]
	v_lshlrev_b32_e32 v16, 1, v44
	v_cmp_gt_i32_e64 s3, s60, v29
	s_and_b32 s13, s10, s11
	s_and_b32 s10, vcc_lo, s12
	s_and_b32 s11, vcc_lo, s74
	v_cmp_gt_i32_e64 s9, s39, v114
	s_and_b32 s12, s0, s3
	s_and_b32 s3, s38, s13
	s_waitcnt lgkmcnt(4)
	v_dot2c_f32_f16 v108, v121, v125
	v_dot2c_f32_f16 v107, v121, v126
	;; [unrolled: 1-line block ×16, first 2 shown]
	s_waitcnt lgkmcnt(3)
	v_dot2c_f32_f16 v106, v121, v129
	v_dot2c_f32_f16 v105, v121, v130
	;; [unrolled: 1-line block ×16, first 2 shown]
	ds_read_b128 v[121:124], v110 offset:17152
	s_waitcnt lgkmcnt(3)
	v_dot2c_f32_f16 v92, v133, v125
	v_dot2c_f32_f16 v91, v133, v126
	;; [unrolled: 1-line block ×16, first 2 shown]
	ds_read_b128 v[125:128], v109 offset:768
	v_dot2c_f32_f16 v90, v133, v129
	v_dot2c_f32_f16 v89, v133, v130
	;; [unrolled: 1-line block ×16, first 2 shown]
	ds_read_b128 v[129:132], v109 offset:1024
	ds_read_b128 v[133:136], v110 offset:17408
	s_waitcnt lgkmcnt(4)
	v_dot2c_f32_f16 v108, v137, v141
	v_dot2c_f32_f16 v107, v137, v142
	;; [unrolled: 1-line block ×16, first 2 shown]
	s_waitcnt lgkmcnt(3)
	v_dot2c_f32_f16 v106, v137, v121
	v_dot2c_f32_f16 v105, v137, v122
	;; [unrolled: 1-line block ×16, first 2 shown]
	ds_read_b128 v[137:140], v110 offset:17664
	s_waitcnt lgkmcnt(3)
	v_dot2c_f32_f16 v92, v125, v141
	v_dot2c_f32_f16 v91, v125, v142
	;; [unrolled: 1-line block ×16, first 2 shown]
	ds_read_b128 v[141:144], v109 offset:1280
	v_dot2c_f32_f16 v90, v125, v121
	v_dot2c_f32_f16 v89, v125, v122
	;; [unrolled: 1-line block ×16, first 2 shown]
	ds_read_b128 v[121:124], v109 offset:1536
	ds_read_b128 v[125:128], v110 offset:17920
	s_waitcnt lgkmcnt(4)
	v_dot2c_f32_f16 v108, v129, v133
	v_dot2c_f32_f16 v107, v129, v134
	v_dot2c_f32_f16 v81, v129, v135
	v_dot2c_f32_f16 v80, v129, v136
	v_dot2c_f32_f16 v104, v130, v133
	v_dot2c_f32_f16 v103, v130, v134
	v_dot2c_f32_f16 v70, v130, v135
	v_dot2c_f32_f16 v69, v130, v136
	v_dot2c_f32_f16 v100, v131, v133
	v_dot2c_f32_f16 v99, v131, v134
	v_dot2c_f32_f16 v68, v131, v135
	v_dot2c_f32_f16 v67, v131, v136
	v_dot2c_f32_f16 v96, v132, v133
	v_dot2c_f32_f16 v95, v132, v134
	v_dot2c_f32_f16 v62, v132, v135
	v_dot2c_f32_f16 v61, v132, v136
	s_waitcnt lgkmcnt(3)
	v_dot2c_f32_f16 v106, v129, v137
	v_dot2c_f32_f16 v105, v129, v138
	;; [unrolled: 1-line block ×16, first 2 shown]
	ds_read_b128 v[129:132], v110 offset:18176
	s_waitcnt lgkmcnt(3)
	v_dot2c_f32_f16 v92, v141, v133
	v_dot2c_f32_f16 v91, v141, v134
	;; [unrolled: 1-line block ×16, first 2 shown]
	ds_read_b128 v[133:136], v109 offset:1792
	v_dot2c_f32_f16 v90, v141, v137
	v_dot2c_f32_f16 v89, v141, v138
	;; [unrolled: 1-line block ×16, first 2 shown]
	ds_read_b128 v[137:140], v109 offset:2048
	ds_read_b128 v[141:144], v110 offset:18432
	s_waitcnt lgkmcnt(4)
	v_dot2c_f32_f16 v108, v121, v125
	v_dot2c_f32_f16 v107, v121, v126
	;; [unrolled: 1-line block ×16, first 2 shown]
	s_waitcnt lgkmcnt(3)
	v_dot2c_f32_f16 v106, v121, v129
	v_dot2c_f32_f16 v105, v121, v130
	v_dot2c_f32_f16 v74, v121, v131
	v_dot2c_f32_f16 v73, v121, v132
	v_dot2c_f32_f16 v102, v122, v129
	v_dot2c_f32_f16 v101, v122, v130
	v_dot2c_f32_f16 v71, v122, v131
	v_dot2c_f32_f16 v72, v122, v132
	v_dot2c_f32_f16 v98, v123, v129
	v_dot2c_f32_f16 v97, v123, v130
	v_dot2c_f32_f16 v65, v123, v131
	v_dot2c_f32_f16 v66, v123, v132
	v_dot2c_f32_f16 v94, v124, v129
	v_dot2c_f32_f16 v93, v124, v130
	v_dot2c_f32_f16 v63, v124, v131
	v_dot2c_f32_f16 v64, v124, v132
	ds_read_b128 v[121:124], v110 offset:18688
	s_waitcnt lgkmcnt(3)
	v_dot2c_f32_f16 v92, v133, v125
	v_dot2c_f32_f16 v91, v133, v126
	;; [unrolled: 1-line block ×16, first 2 shown]
	ds_read_b128 v[125:128], v109 offset:2304
	v_dot2c_f32_f16 v90, v133, v129
	v_dot2c_f32_f16 v89, v133, v130
	;; [unrolled: 1-line block ×16, first 2 shown]
	ds_read_b128 v[129:132], v109 offset:2560
	ds_read_b128 v[133:136], v110 offset:18944
	s_waitcnt lgkmcnt(4)
	v_dot2c_f32_f16 v108, v137, v141
	v_dot2c_f32_f16 v107, v137, v142
	;; [unrolled: 1-line block ×16, first 2 shown]
	s_waitcnt lgkmcnt(3)
	v_dot2c_f32_f16 v106, v137, v121
	v_dot2c_f32_f16 v105, v137, v122
	;; [unrolled: 1-line block ×16, first 2 shown]
	ds_read_b128 v[137:140], v110 offset:19200
	s_waitcnt lgkmcnt(3)
	v_dot2c_f32_f16 v92, v125, v141
	v_dot2c_f32_f16 v91, v125, v142
	;; [unrolled: 1-line block ×16, first 2 shown]
	ds_read_b128 v[141:144], v109 offset:2816
	v_dot2c_f32_f16 v90, v125, v121
	v_dot2c_f32_f16 v89, v125, v122
	;; [unrolled: 1-line block ×16, first 2 shown]
	ds_read_b128 v[121:124], v109 offset:3072
	ds_read_b128 v[125:128], v110 offset:19456
	s_waitcnt lgkmcnt(4)
	v_dot2c_f32_f16 v108, v129, v133
	v_dot2c_f32_f16 v107, v129, v134
	;; [unrolled: 1-line block ×16, first 2 shown]
	s_waitcnt lgkmcnt(3)
	v_dot2c_f32_f16 v106, v129, v137
	v_dot2c_f32_f16 v105, v129, v138
	;; [unrolled: 1-line block ×16, first 2 shown]
	ds_read_b128 v[129:132], v110 offset:19712
	s_waitcnt lgkmcnt(3)
	v_dot2c_f32_f16 v92, v141, v133
	v_dot2c_f32_f16 v91, v141, v134
	;; [unrolled: 1-line block ×16, first 2 shown]
	ds_read_b128 v[133:136], v109 offset:3328
	v_dot2c_f32_f16 v90, v141, v137
	v_dot2c_f32_f16 v89, v141, v138
	;; [unrolled: 1-line block ×16, first 2 shown]
	ds_read_b128 v[137:140], v109 offset:3584
	ds_read_b128 v[141:144], v110 offset:19968
	s_waitcnt lgkmcnt(4)
	v_dot2c_f32_f16 v108, v121, v125
	v_dot2c_f32_f16 v107, v121, v126
	;; [unrolled: 1-line block ×16, first 2 shown]
	s_waitcnt lgkmcnt(3)
	v_dot2c_f32_f16 v106, v121, v129
	v_dot2c_f32_f16 v105, v121, v130
	;; [unrolled: 1-line block ×16, first 2 shown]
	ds_read_b128 v[121:124], v110 offset:20224
	s_waitcnt lgkmcnt(3)
	v_dot2c_f32_f16 v92, v133, v125
	v_dot2c_f32_f16 v91, v133, v126
	;; [unrolled: 1-line block ×16, first 2 shown]
	ds_read_b128 v[125:128], v109 offset:3840
	v_dot2c_f32_f16 v90, v133, v129
	v_dot2c_f32_f16 v89, v133, v130
	v_dot2c_f32_f16 v48, v133, v131
	v_dot2c_f32_f16 v47, v133, v132
	v_dot2c_f32_f16 v85, v134, v129
	v_dot2c_f32_f16 v83, v134, v130
	v_dot2c_f32_f16 v50, v134, v131
	v_dot2c_f32_f16 v49, v134, v132
	v_dot2c_f32_f16 v77, v135, v129
	v_dot2c_f32_f16 v76, v135, v130
	v_dot2c_f32_f16 v56, v135, v131
	v_dot2c_f32_f16 v55, v135, v132
	v_dot2c_f32_f16 v84, v136, v129
	v_dot2c_f32_f16 v82, v136, v130
	v_dot2c_f32_f16 v57, v136, v131
	v_dot2c_f32_f16 v58, v136, v132
	ds_read_b128 v[129:132], v109 offset:4096
	ds_read_b128 v[133:136], v110 offset:20480
	s_waitcnt lgkmcnt(4)
	v_dot2c_f32_f16 v108, v137, v141
	v_dot2c_f32_f16 v107, v137, v142
	;; [unrolled: 1-line block ×16, first 2 shown]
	s_waitcnt lgkmcnt(3)
	v_dot2c_f32_f16 v106, v137, v121
	v_dot2c_f32_f16 v105, v137, v122
	;; [unrolled: 1-line block ×16, first 2 shown]
	ds_read_b128 v[137:140], v110 offset:20736
	s_waitcnt lgkmcnt(3)
	v_dot2c_f32_f16 v92, v125, v141
	v_dot2c_f32_f16 v91, v125, v142
	;; [unrolled: 1-line block ×16, first 2 shown]
	ds_read_b128 v[141:144], v109 offset:4352
	v_dot2c_f32_f16 v90, v125, v121
	v_dot2c_f32_f16 v89, v125, v122
	;; [unrolled: 1-line block ×16, first 2 shown]
	ds_read_b128 v[121:124], v109 offset:4608
	ds_read_b128 v[125:128], v110 offset:20992
	s_waitcnt lgkmcnt(4)
	v_dot2c_f32_f16 v108, v129, v133
	v_dot2c_f32_f16 v107, v129, v134
	;; [unrolled: 1-line block ×16, first 2 shown]
	s_waitcnt lgkmcnt(3)
	v_dot2c_f32_f16 v106, v129, v137
	v_dot2c_f32_f16 v105, v129, v138
	;; [unrolled: 1-line block ×16, first 2 shown]
	ds_read_b128 v[129:132], v110 offset:21248
	s_waitcnt lgkmcnt(3)
	v_dot2c_f32_f16 v92, v141, v133
	v_dot2c_f32_f16 v91, v141, v134
	;; [unrolled: 1-line block ×16, first 2 shown]
	ds_read_b128 v[133:136], v109 offset:4864
	v_dot2c_f32_f16 v90, v141, v137
	v_dot2c_f32_f16 v89, v141, v138
	;; [unrolled: 1-line block ×16, first 2 shown]
	ds_read_b128 v[137:140], v109 offset:5120
	ds_read_b128 v[141:144], v110 offset:21504
	s_waitcnt lgkmcnt(4)
	v_dot2c_f32_f16 v108, v121, v125
	v_dot2c_f32_f16 v107, v121, v126
	v_dot2c_f32_f16 v81, v121, v127
	v_dot2c_f32_f16 v80, v121, v128
	v_dot2c_f32_f16 v104, v122, v125
	v_dot2c_f32_f16 v103, v122, v126
	v_dot2c_f32_f16 v70, v122, v127
	v_dot2c_f32_f16 v69, v122, v128
	v_dot2c_f32_f16 v100, v123, v125
	v_dot2c_f32_f16 v99, v123, v126
	v_dot2c_f32_f16 v68, v123, v127
	v_dot2c_f32_f16 v67, v123, v128
	v_dot2c_f32_f16 v96, v124, v125
	v_dot2c_f32_f16 v95, v124, v126
	v_dot2c_f32_f16 v62, v124, v127
	v_dot2c_f32_f16 v61, v124, v128
	s_waitcnt lgkmcnt(3)
	v_dot2c_f32_f16 v106, v121, v129
	v_dot2c_f32_f16 v105, v121, v130
	;; [unrolled: 1-line block ×16, first 2 shown]
	ds_read_b128 v[121:124], v110 offset:21760
	s_waitcnt lgkmcnt(3)
	v_dot2c_f32_f16 v92, v133, v125
	v_dot2c_f32_f16 v91, v133, v126
	;; [unrolled: 1-line block ×16, first 2 shown]
	ds_read_b128 v[125:128], v109 offset:5376
	v_dot2c_f32_f16 v90, v133, v129
	v_dot2c_f32_f16 v89, v133, v130
	;; [unrolled: 1-line block ×16, first 2 shown]
	ds_read_b128 v[129:132], v109 offset:5632
	ds_read_b128 v[133:136], v110 offset:22016
	s_waitcnt lgkmcnt(4)
	v_dot2c_f32_f16 v108, v137, v141
	v_dot2c_f32_f16 v107, v137, v142
	;; [unrolled: 1-line block ×16, first 2 shown]
	s_waitcnt lgkmcnt(3)
	v_dot2c_f32_f16 v106, v137, v121
	v_dot2c_f32_f16 v105, v137, v122
	;; [unrolled: 1-line block ×16, first 2 shown]
	ds_read_b128 v[137:140], v110 offset:22272
	s_waitcnt lgkmcnt(3)
	v_dot2c_f32_f16 v92, v125, v141
	v_dot2c_f32_f16 v91, v125, v142
	;; [unrolled: 1-line block ×16, first 2 shown]
	ds_read_b128 v[141:144], v109 offset:5888
	v_dot2c_f32_f16 v90, v125, v121
	v_dot2c_f32_f16 v89, v125, v122
	;; [unrolled: 1-line block ×16, first 2 shown]
	ds_read_b128 v[121:124], v109 offset:6144
	ds_read_b128 v[125:128], v110 offset:22528
	s_waitcnt lgkmcnt(4)
	v_dot2c_f32_f16 v108, v129, v133
	v_dot2c_f32_f16 v107, v129, v134
	;; [unrolled: 1-line block ×16, first 2 shown]
	s_waitcnt lgkmcnt(3)
	v_dot2c_f32_f16 v106, v129, v137
	v_dot2c_f32_f16 v105, v129, v138
	;; [unrolled: 1-line block ×16, first 2 shown]
	ds_read_b128 v[129:132], v110 offset:22784
	s_waitcnt lgkmcnt(3)
	v_dot2c_f32_f16 v92, v141, v133
	v_dot2c_f32_f16 v91, v141, v134
	;; [unrolled: 1-line block ×16, first 2 shown]
	s_clause 0x1
	buffer_load_dwordx4 v[133:136], v18, s[28:31], 0 offen
	buffer_load_dwordx4 v[145:148], v19, s[28:31], 0 offen
	v_dot2c_f32_f16 v90, v141, v137
	v_dot2c_f32_f16 v89, v141, v138
	;; [unrolled: 1-line block ×16, first 2 shown]
	ds_read_b128 v[137:140], v109 offset:6400
	ds_read_b128 v[141:144], v109 offset:6656
	s_waitcnt lgkmcnt(3)
	v_dot2c_f32_f16 v108, v121, v125
	v_dot2c_f32_f16 v107, v121, v126
	;; [unrolled: 1-line block ×16, first 2 shown]
	s_waitcnt lgkmcnt(2)
	v_dot2c_f32_f16 v106, v121, v129
	v_dot2c_f32_f16 v105, v121, v130
	;; [unrolled: 1-line block ×16, first 2 shown]
	ds_read_b128 v[121:124], v110 offset:23040
	s_waitcnt lgkmcnt(2)
	v_dot2c_f32_f16 v92, v137, v125
	v_dot2c_f32_f16 v91, v137, v126
	;; [unrolled: 1-line block ×16, first 2 shown]
	ds_read_b128 v[125:128], v110 offset:23296
	v_dot2c_f32_f16 v90, v137, v129
	v_dot2c_f32_f16 v89, v137, v130
	;; [unrolled: 1-line block ×16, first 2 shown]
	ds_read_b128 v[129:132], v109 offset:6912
	ds_read_b128 v[137:140], v109 offset:7168
	v_lshlrev_b32_e32 v18, 1, v20
	s_waitcnt lgkmcnt(3)
	v_dot2c_f32_f16 v108, v141, v121
	v_dot2c_f32_f16 v107, v141, v122
	;; [unrolled: 1-line block ×16, first 2 shown]
	s_waitcnt lgkmcnt(2)
	v_dot2c_f32_f16 v106, v141, v125
	v_dot2c_f32_f16 v105, v141, v126
	;; [unrolled: 1-line block ×16, first 2 shown]
	ds_read_b128 v[141:144], v110 offset:23552
	s_waitcnt lgkmcnt(2)
	v_dot2c_f32_f16 v92, v129, v121
	v_dot2c_f32_f16 v91, v129, v122
	;; [unrolled: 1-line block ×16, first 2 shown]
	ds_read_b128 v[121:124], v110 offset:23808
	v_dot2c_f32_f16 v90, v129, v125
	v_dot2c_f32_f16 v89, v129, v126
	v_dot2c_f32_f16 v48, v129, v127
	v_dot2c_f32_f16 v47, v129, v128
	v_dot2c_f32_f16 v85, v130, v125
	v_dot2c_f32_f16 v83, v130, v126
	v_dot2c_f32_f16 v50, v130, v127
	v_dot2c_f32_f16 v49, v130, v128
	v_dot2c_f32_f16 v77, v131, v125
	v_dot2c_f32_f16 v76, v131, v126
	v_dot2c_f32_f16 v56, v131, v127
	v_dot2c_f32_f16 v55, v131, v128
	v_dot2c_f32_f16 v84, v132, v125
	v_dot2c_f32_f16 v82, v132, v126
	v_dot2c_f32_f16 v57, v132, v127
	v_dot2c_f32_f16 v58, v132, v128
	ds_read_b128 v[125:128], v109 offset:7424
	ds_read_b128 v[129:132], v109 offset:7680
	s_clause 0x1
	buffer_load_dwordx4 v[20:23], v18, s[24:27], 0 offen
	buffer_load_dwordx4 v[16:19], v16, s[24:27], 0 offen
	s_waitcnt lgkmcnt(3)
	v_dot2c_f32_f16 v108, v137, v141
	v_dot2c_f32_f16 v107, v137, v142
	;; [unrolled: 1-line block ×16, first 2 shown]
	s_waitcnt lgkmcnt(2)
	v_dot2c_f32_f16 v106, v137, v121
	v_dot2c_f32_f16 v105, v137, v122
	;; [unrolled: 1-line block ×16, first 2 shown]
	ds_read_b128 v[137:140], v110 offset:24064
	s_waitcnt lgkmcnt(2)
	v_dot2c_f32_f16 v92, v125, v141
	v_dot2c_f32_f16 v91, v125, v142
	;; [unrolled: 1-line block ×16, first 2 shown]
	ds_read_b128 v[141:144], v110 offset:24320
	v_dot2c_f32_f16 v90, v125, v121
	v_dot2c_f32_f16 v89, v125, v122
	v_dot2c_f32_f16 v48, v125, v123
	v_dot2c_f32_f16 v47, v125, v124
	v_dot2c_f32_f16 v85, v126, v121
	v_dot2c_f32_f16 v83, v126, v122
	v_dot2c_f32_f16 v50, v126, v123
	v_dot2c_f32_f16 v49, v126, v124
	v_dot2c_f32_f16 v77, v127, v121
	v_dot2c_f32_f16 v76, v127, v122
	v_dot2c_f32_f16 v56, v127, v123
	v_dot2c_f32_f16 v55, v127, v124
	v_dot2c_f32_f16 v84, v128, v121
	v_dot2c_f32_f16 v82, v128, v122
	v_dot2c_f32_f16 v57, v128, v123
	v_dot2c_f32_f16 v58, v128, v124
	ds_read_b128 v[121:124], v109 offset:7936
	s_waitcnt vmcnt(7)
	v_cndmask_b32_e64 v5, 0, v5, s7
	v_cndmask_b32_e64 v4, 0, v4, s7
	;; [unrolled: 1-line block ×4, first 2 shown]
	s_waitcnt vmcnt(6)
	v_cndmask_b32_e64 v1, 0, v1, s1
	v_cndmask_b32_e64 v0, 0, v0, s1
	;; [unrolled: 1-line block ×4, first 2 shown]
	ds_write2st64_b32 v113, v4, v5 offset0:96 offset1:98
	ds_write2st64_b32 v113, v6, v7 offset0:100 offset1:102
	;; [unrolled: 1-line block ×4, first 2 shown]
	s_waitcnt vmcnt(5)
	v_cndmask_b32_e64 v0, 0, v11, s10
	v_cndmask_b32_e64 v1, 0, v10, s10
	v_cndmask_b32_e64 v2, 0, v9, s10
	v_cndmask_b32_e64 v3, 0, v8, s10
	s_waitcnt vmcnt(4)
	v_cndmask_b32_e64 v10, 0, v13, s11
	v_cndmask_b32_e64 v11, 0, v12, s11
	;; [unrolled: 1-line block ×4, first 2 shown]
	s_waitcnt lgkmcnt(6)
	v_dot2c_f32_f16 v108, v129, v137
	v_dot2c_f32_f16 v107, v129, v138
	v_dot2c_f32_f16 v81, v129, v139
	v_dot2c_f32_f16 v80, v129, v140
	v_dot2c_f32_f16 v104, v130, v137
	v_dot2c_f32_f16 v103, v130, v138
	v_dot2c_f32_f16 v70, v130, v139
	v_dot2c_f32_f16 v69, v130, v140
	v_dot2c_f32_f16 v100, v131, v137
	v_dot2c_f32_f16 v99, v131, v138
	v_dot2c_f32_f16 v68, v131, v139
	v_dot2c_f32_f16 v67, v131, v140
	v_dot2c_f32_f16 v96, v132, v137
	v_dot2c_f32_f16 v95, v132, v138
	v_dot2c_f32_f16 v62, v132, v139
	v_dot2c_f32_f16 v61, v132, v140
	s_waitcnt lgkmcnt(5)
	v_dot2c_f32_f16 v106, v129, v141
	v_dot2c_f32_f16 v105, v129, v142
	v_dot2c_f32_f16 v74, v129, v143
	v_dot2c_f32_f16 v73, v129, v144
	v_dot2c_f32_f16 v102, v130, v141
	v_dot2c_f32_f16 v101, v130, v142
	v_dot2c_f32_f16 v71, v130, v143
	v_dot2c_f32_f16 v72, v130, v144
	v_dot2c_f32_f16 v98, v131, v141
	v_dot2c_f32_f16 v97, v131, v142
	v_dot2c_f32_f16 v65, v131, v143
	v_dot2c_f32_f16 v66, v131, v144
	v_dot2c_f32_f16 v94, v132, v141
	v_dot2c_f32_f16 v93, v132, v142
	v_dot2c_f32_f16 v63, v132, v143
	v_dot2c_f32_f16 v64, v132, v144
	;; [unrolled: 17-line block ×3, first 2 shown]
	v_dot2c_f32_f16 v90, v121, v141
	v_dot2c_f32_f16 v89, v121, v142
	;; [unrolled: 1-line block ×16, first 2 shown]
	ds_write2st64_b32 v113, v3, v2 offset0:32 offset1:34
	ds_write2st64_b32 v113, v1, v0 offset0:36 offset1:38
	;; [unrolled: 1-line block ×4, first 2 shown]
	s_waitcnt lgkmcnt(0)
	s_barrier
	s_and_b32 s3, vcc_lo, s3
	v_cmp_gt_i32_e64 s6, s60, v28
	v_cmp_le_i32_e64 s8, s59, v114
	s_and_b32 s2, s9, s2
	v_add_nc_u32_e32 v28, s70, v28
	v_add_nc_u32_e32 v29, s70, v29
	s_and_b32 s6, s0, s6
	s_and_b32 s2, s2, s8
	v_add_nc_u32_e32 v30, s70, v30
	s_and_b32 s2, s14, s2
	v_add_nc_u32_e32 v31, s70, v31
	s_waitcnt vmcnt(3)
	v_cndmask_b32_e64 v0, 0, v136, s12
	v_cndmask_b32_e64 v1, 0, v135, s12
	;; [unrolled: 1-line block ×4, first 2 shown]
	ds_read_b128 v[8:11], v109 offset:8192
	ds_read_b128 v[12:15], v110 offset:24576
	;; [unrolled: 1-line block ×7, first 2 shown]
	s_waitcnt vmcnt(2)
	v_cndmask_b32_e64 v6, 0, v146, s6
	v_cndmask_b32_e64 v7, 0, v145, s6
	;; [unrolled: 1-line block ×4, first 2 shown]
	v_add_nc_u32_e32 v119, s71, v119
	v_add_nc_u32_e32 v43, s72, v43
	v_add_nc_u32_e32 v42, s72, v42
	v_add_nc_u32_e32 v41, s72, v41
	v_add_nc_u32_e32 v40, s72, v40
	s_and_b32 s2, vcc_lo, s2
	s_add_i32 s68, s68, 32
	s_add_i32 s61, s61, s72
	s_cmp_lt_i32 s68, s69
	s_waitcnt lgkmcnt(5)
	v_dot2c_f32_f16 v108, v8, v12
	v_dot2c_f32_f16 v107, v8, v13
	;; [unrolled: 1-line block ×16, first 2 shown]
	s_waitcnt lgkmcnt(4)
	v_dot2c_f32_f16 v106, v8, v121
	v_dot2c_f32_f16 v105, v8, v122
	v_dot2c_f32_f16 v74, v8, v123
	v_dot2c_f32_f16 v73, v8, v124
	v_dot2c_f32_f16 v102, v9, v121
	v_dot2c_f32_f16 v101, v9, v122
	v_dot2c_f32_f16 v71, v9, v123
	v_dot2c_f32_f16 v72, v9, v124
	v_dot2c_f32_f16 v98, v10, v121
	v_dot2c_f32_f16 v97, v10, v122
	v_dot2c_f32_f16 v65, v10, v123
	v_dot2c_f32_f16 v66, v10, v124
	v_dot2c_f32_f16 v94, v11, v121
	v_dot2c_f32_f16 v93, v11, v122
	v_dot2c_f32_f16 v63, v11, v123
	v_dot2c_f32_f16 v64, v11, v124
	ds_read_b128 v[8:11], v109 offset:8960
	s_waitcnt lgkmcnt(4)
	v_dot2c_f32_f16 v92, v125, v12
	v_dot2c_f32_f16 v91, v125, v13
	;; [unrolled: 1-line block ×16, first 2 shown]
	ds_read_b128 v[12:15], v109 offset:9216
	v_dot2c_f32_f16 v90, v125, v121
	v_dot2c_f32_f16 v89, v125, v122
	;; [unrolled: 1-line block ×16, first 2 shown]
	ds_read_b128 v[121:124], v110 offset:25600
	ds_read_b128 v[125:128], v110 offset:25856
	s_waitcnt lgkmcnt(5)
	v_dot2c_f32_f16 v108, v129, v133
	v_dot2c_f32_f16 v107, v129, v134
	;; [unrolled: 1-line block ×16, first 2 shown]
	s_waitcnt lgkmcnt(4)
	v_dot2c_f32_f16 v106, v129, v137
	v_dot2c_f32_f16 v105, v129, v138
	;; [unrolled: 1-line block ×16, first 2 shown]
	ds_read_b128 v[129:132], v109 offset:9472
	s_waitcnt lgkmcnt(4)
	v_dot2c_f32_f16 v92, v8, v133
	v_dot2c_f32_f16 v91, v8, v134
	;; [unrolled: 1-line block ×16, first 2 shown]
	ds_read_b128 v[133:136], v109 offset:9728
	v_dot2c_f32_f16 v90, v8, v137
	v_dot2c_f32_f16 v89, v8, v138
	;; [unrolled: 1-line block ×16, first 2 shown]
	ds_read_b128 v[8:11], v110 offset:26112
	ds_read_b128 v[137:140], v110 offset:26368
	s_waitcnt lgkmcnt(5)
	v_dot2c_f32_f16 v108, v12, v121
	v_dot2c_f32_f16 v107, v12, v122
	;; [unrolled: 1-line block ×16, first 2 shown]
	s_waitcnt lgkmcnt(4)
	v_dot2c_f32_f16 v106, v12, v125
	v_dot2c_f32_f16 v105, v12, v126
	v_dot2c_f32_f16 v74, v12, v127
	v_dot2c_f32_f16 v73, v12, v128
	v_dot2c_f32_f16 v102, v13, v125
	v_dot2c_f32_f16 v101, v13, v126
	v_dot2c_f32_f16 v71, v13, v127
	v_dot2c_f32_f16 v72, v13, v128
	v_dot2c_f32_f16 v98, v14, v125
	v_dot2c_f32_f16 v97, v14, v126
	v_dot2c_f32_f16 v65, v14, v127
	v_dot2c_f32_f16 v66, v14, v128
	v_dot2c_f32_f16 v94, v15, v125
	v_dot2c_f32_f16 v93, v15, v126
	v_dot2c_f32_f16 v63, v15, v127
	v_dot2c_f32_f16 v64, v15, v128
	ds_read_b128 v[12:15], v109 offset:9984
	s_waitcnt lgkmcnt(4)
	v_dot2c_f32_f16 v92, v129, v121
	v_dot2c_f32_f16 v91, v129, v122
	;; [unrolled: 1-line block ×16, first 2 shown]
	ds_read_b128 v[121:124], v109 offset:10240
	v_dot2c_f32_f16 v90, v129, v125
	v_dot2c_f32_f16 v89, v129, v126
	;; [unrolled: 1-line block ×16, first 2 shown]
	ds_read_b128 v[125:128], v110 offset:26624
	ds_read_b128 v[129:132], v110 offset:26880
	s_waitcnt lgkmcnt(5)
	v_dot2c_f32_f16 v108, v133, v8
	v_dot2c_f32_f16 v107, v133, v9
	;; [unrolled: 1-line block ×16, first 2 shown]
	s_waitcnt lgkmcnt(4)
	v_dot2c_f32_f16 v106, v133, v137
	v_dot2c_f32_f16 v105, v133, v138
	;; [unrolled: 1-line block ×16, first 2 shown]
	ds_read_b128 v[133:136], v109 offset:10496
	s_waitcnt lgkmcnt(4)
	v_dot2c_f32_f16 v92, v12, v8
	v_dot2c_f32_f16 v91, v12, v9
	;; [unrolled: 1-line block ×16, first 2 shown]
	ds_read_b128 v[8:11], v109 offset:10752
	v_dot2c_f32_f16 v90, v12, v137
	v_dot2c_f32_f16 v89, v12, v138
	v_dot2c_f32_f16 v48, v12, v139
	v_dot2c_f32_f16 v47, v12, v140
	v_dot2c_f32_f16 v85, v13, v137
	v_dot2c_f32_f16 v83, v13, v138
	v_dot2c_f32_f16 v50, v13, v139
	v_dot2c_f32_f16 v49, v13, v140
	v_dot2c_f32_f16 v77, v14, v137
	v_dot2c_f32_f16 v76, v14, v138
	v_dot2c_f32_f16 v56, v14, v139
	v_dot2c_f32_f16 v55, v14, v140
	v_dot2c_f32_f16 v84, v15, v137
	v_dot2c_f32_f16 v82, v15, v138
	v_dot2c_f32_f16 v57, v15, v139
	v_dot2c_f32_f16 v58, v15, v140
	ds_read_b128 v[12:15], v110 offset:27136
	ds_read_b128 v[137:140], v110 offset:27392
	s_waitcnt lgkmcnt(5)
	v_dot2c_f32_f16 v108, v121, v125
	v_dot2c_f32_f16 v107, v121, v126
	;; [unrolled: 1-line block ×16, first 2 shown]
	s_waitcnt lgkmcnt(4)
	v_dot2c_f32_f16 v106, v121, v129
	v_dot2c_f32_f16 v105, v121, v130
	v_dot2c_f32_f16 v74, v121, v131
	v_dot2c_f32_f16 v73, v121, v132
	v_dot2c_f32_f16 v102, v122, v129
	v_dot2c_f32_f16 v101, v122, v130
	v_dot2c_f32_f16 v71, v122, v131
	v_dot2c_f32_f16 v72, v122, v132
	v_dot2c_f32_f16 v98, v123, v129
	v_dot2c_f32_f16 v97, v123, v130
	v_dot2c_f32_f16 v65, v123, v131
	v_dot2c_f32_f16 v66, v123, v132
	v_dot2c_f32_f16 v94, v124, v129
	v_dot2c_f32_f16 v93, v124, v130
	v_dot2c_f32_f16 v63, v124, v131
	v_dot2c_f32_f16 v64, v124, v132
	ds_read_b128 v[121:124], v109 offset:11008
	s_waitcnt lgkmcnt(4)
	v_dot2c_f32_f16 v92, v133, v125
	v_dot2c_f32_f16 v91, v133, v126
	;; [unrolled: 1-line block ×16, first 2 shown]
	ds_read_b128 v[125:128], v109 offset:11264
	v_dot2c_f32_f16 v90, v133, v129
	v_dot2c_f32_f16 v89, v133, v130
	;; [unrolled: 1-line block ×16, first 2 shown]
	ds_read_b128 v[129:132], v110 offset:27648
	ds_read_b128 v[133:136], v110 offset:27904
	s_waitcnt lgkmcnt(5)
	v_dot2c_f32_f16 v108, v8, v12
	v_dot2c_f32_f16 v107, v8, v13
	;; [unrolled: 1-line block ×16, first 2 shown]
	s_waitcnt lgkmcnt(4)
	v_dot2c_f32_f16 v106, v8, v137
	v_dot2c_f32_f16 v105, v8, v138
	;; [unrolled: 1-line block ×16, first 2 shown]
	ds_read_b128 v[8:11], v109 offset:11520
	s_waitcnt lgkmcnt(4)
	v_dot2c_f32_f16 v92, v121, v12
	v_dot2c_f32_f16 v91, v121, v13
	;; [unrolled: 1-line block ×16, first 2 shown]
	ds_read_b128 v[12:15], v109 offset:11776
	v_dot2c_f32_f16 v90, v121, v137
	v_dot2c_f32_f16 v89, v121, v138
	;; [unrolled: 1-line block ×16, first 2 shown]
	ds_read_b128 v[121:124], v110 offset:28160
	ds_read_b128 v[137:140], v110 offset:28416
	s_waitcnt lgkmcnt(5)
	v_dot2c_f32_f16 v108, v125, v129
	v_dot2c_f32_f16 v107, v125, v130
	;; [unrolled: 1-line block ×16, first 2 shown]
	s_waitcnt lgkmcnt(4)
	v_dot2c_f32_f16 v106, v125, v133
	v_dot2c_f32_f16 v105, v125, v134
	;; [unrolled: 1-line block ×16, first 2 shown]
	ds_read_b128 v[125:128], v109 offset:12032
	s_waitcnt lgkmcnt(4)
	v_dot2c_f32_f16 v92, v8, v129
	v_dot2c_f32_f16 v91, v8, v130
	;; [unrolled: 1-line block ×16, first 2 shown]
	ds_read_b128 v[129:132], v109 offset:12288
	v_dot2c_f32_f16 v90, v8, v133
	v_dot2c_f32_f16 v89, v8, v134
	;; [unrolled: 1-line block ×16, first 2 shown]
	ds_read_b128 v[8:11], v110 offset:28672
	ds_read_b128 v[133:136], v110 offset:28928
	s_waitcnt lgkmcnt(5)
	v_dot2c_f32_f16 v108, v12, v121
	v_dot2c_f32_f16 v107, v12, v122
	;; [unrolled: 1-line block ×16, first 2 shown]
	s_waitcnt lgkmcnt(4)
	v_dot2c_f32_f16 v106, v12, v137
	v_dot2c_f32_f16 v105, v12, v138
	;; [unrolled: 1-line block ×16, first 2 shown]
	ds_read_b128 v[12:15], v109 offset:12544
	s_waitcnt lgkmcnt(4)
	v_dot2c_f32_f16 v92, v125, v121
	v_dot2c_f32_f16 v91, v125, v122
	;; [unrolled: 1-line block ×16, first 2 shown]
	ds_read_b128 v[121:124], v109 offset:12800
	v_dot2c_f32_f16 v90, v125, v137
	v_dot2c_f32_f16 v89, v125, v138
	v_dot2c_f32_f16 v48, v125, v139
	v_dot2c_f32_f16 v47, v125, v140
	v_dot2c_f32_f16 v85, v126, v137
	v_dot2c_f32_f16 v83, v126, v138
	v_dot2c_f32_f16 v50, v126, v139
	v_dot2c_f32_f16 v49, v126, v140
	v_dot2c_f32_f16 v77, v127, v137
	v_dot2c_f32_f16 v76, v127, v138
	v_dot2c_f32_f16 v56, v127, v139
	v_dot2c_f32_f16 v55, v127, v140
	v_dot2c_f32_f16 v84, v128, v137
	v_dot2c_f32_f16 v82, v128, v138
	v_dot2c_f32_f16 v57, v128, v139
	v_dot2c_f32_f16 v58, v128, v140
	ds_read_b128 v[125:128], v110 offset:29184
	ds_read_b128 v[137:140], v110 offset:29440
	s_waitcnt lgkmcnt(5)
	v_dot2c_f32_f16 v108, v129, v8
	v_dot2c_f32_f16 v107, v129, v9
	;; [unrolled: 1-line block ×16, first 2 shown]
	s_waitcnt lgkmcnt(4)
	v_dot2c_f32_f16 v106, v129, v133
	v_dot2c_f32_f16 v105, v129, v134
	;; [unrolled: 1-line block ×16, first 2 shown]
	ds_read_b128 v[129:132], v109 offset:13056
	s_waitcnt lgkmcnt(4)
	v_dot2c_f32_f16 v92, v12, v8
	v_dot2c_f32_f16 v91, v12, v9
	;; [unrolled: 1-line block ×16, first 2 shown]
	ds_read_b128 v[8:11], v109 offset:13312
	v_dot2c_f32_f16 v90, v12, v133
	v_dot2c_f32_f16 v89, v12, v134
	;; [unrolled: 1-line block ×16, first 2 shown]
	ds_read_b128 v[12:15], v110 offset:29696
	ds_read_b128 v[133:136], v110 offset:29952
	s_waitcnt lgkmcnt(5)
	v_dot2c_f32_f16 v108, v121, v125
	v_dot2c_f32_f16 v107, v121, v126
	;; [unrolled: 1-line block ×16, first 2 shown]
	s_waitcnt lgkmcnt(4)
	v_dot2c_f32_f16 v106, v121, v137
	v_dot2c_f32_f16 v105, v121, v138
	;; [unrolled: 1-line block ×16, first 2 shown]
	ds_read_b128 v[121:124], v109 offset:13568
	s_waitcnt lgkmcnt(4)
	v_dot2c_f32_f16 v92, v129, v125
	v_dot2c_f32_f16 v91, v129, v126
	;; [unrolled: 1-line block ×16, first 2 shown]
	ds_read_b128 v[125:128], v109 offset:13824
	v_dot2c_f32_f16 v90, v129, v137
	v_dot2c_f32_f16 v89, v129, v138
	;; [unrolled: 1-line block ×16, first 2 shown]
	ds_read_b128 v[129:132], v110 offset:30208
	ds_read_b128 v[137:140], v110 offset:30464
	s_waitcnt lgkmcnt(5)
	v_dot2c_f32_f16 v108, v8, v12
	v_dot2c_f32_f16 v107, v8, v13
	;; [unrolled: 1-line block ×16, first 2 shown]
	s_waitcnt lgkmcnt(4)
	v_dot2c_f32_f16 v106, v8, v133
	v_dot2c_f32_f16 v105, v8, v134
	;; [unrolled: 1-line block ×16, first 2 shown]
	ds_read_b128 v[8:11], v109 offset:14080
	s_waitcnt lgkmcnt(4)
	v_dot2c_f32_f16 v92, v121, v12
	v_dot2c_f32_f16 v91, v121, v13
	;; [unrolled: 1-line block ×16, first 2 shown]
	ds_read_b128 v[12:15], v109 offset:14336
	v_dot2c_f32_f16 v90, v121, v133
	v_dot2c_f32_f16 v89, v121, v134
	;; [unrolled: 1-line block ×16, first 2 shown]
	ds_read_b128 v[121:124], v110 offset:30720
	ds_read_b128 v[133:136], v110 offset:30976
	s_waitcnt lgkmcnt(5)
	v_dot2c_f32_f16 v108, v125, v129
	v_dot2c_f32_f16 v107, v125, v130
	;; [unrolled: 1-line block ×16, first 2 shown]
	s_waitcnt lgkmcnt(4)
	v_dot2c_f32_f16 v106, v125, v137
	v_dot2c_f32_f16 v105, v125, v138
	v_dot2c_f32_f16 v74, v125, v139
	v_dot2c_f32_f16 v73, v125, v140
	v_dot2c_f32_f16 v102, v126, v137
	v_dot2c_f32_f16 v101, v126, v138
	v_dot2c_f32_f16 v71, v126, v139
	v_dot2c_f32_f16 v72, v126, v140
	v_dot2c_f32_f16 v98, v127, v137
	v_dot2c_f32_f16 v97, v127, v138
	v_dot2c_f32_f16 v65, v127, v139
	v_dot2c_f32_f16 v66, v127, v140
	v_dot2c_f32_f16 v94, v128, v137
	v_dot2c_f32_f16 v93, v128, v138
	v_dot2c_f32_f16 v63, v128, v139
	v_dot2c_f32_f16 v64, v128, v140
	ds_read_b128 v[125:128], v109 offset:14592
	s_waitcnt lgkmcnt(4)
	v_dot2c_f32_f16 v92, v8, v129
	v_dot2c_f32_f16 v91, v8, v130
	;; [unrolled: 1-line block ×16, first 2 shown]
	ds_read_b128 v[129:132], v109 offset:14848
	v_dot2c_f32_f16 v90, v8, v137
	v_dot2c_f32_f16 v89, v8, v138
	;; [unrolled: 1-line block ×16, first 2 shown]
	ds_read_b128 v[8:11], v110 offset:31232
	ds_read_b128 v[137:140], v110 offset:31488
	s_waitcnt lgkmcnt(5)
	v_dot2c_f32_f16 v108, v12, v121
	v_dot2c_f32_f16 v107, v12, v122
	v_dot2c_f32_f16 v81, v12, v123
	v_dot2c_f32_f16 v80, v12, v124
	v_dot2c_f32_f16 v104, v13, v121
	v_dot2c_f32_f16 v103, v13, v122
	v_dot2c_f32_f16 v70, v13, v123
	v_dot2c_f32_f16 v69, v13, v124
	v_dot2c_f32_f16 v100, v14, v121
	v_dot2c_f32_f16 v99, v14, v122
	v_dot2c_f32_f16 v68, v14, v123
	v_dot2c_f32_f16 v67, v14, v124
	v_dot2c_f32_f16 v96, v15, v121
	v_dot2c_f32_f16 v95, v15, v122
	v_dot2c_f32_f16 v62, v15, v123
	v_dot2c_f32_f16 v61, v15, v124
	s_waitcnt lgkmcnt(4)
	v_dot2c_f32_f16 v106, v12, v133
	v_dot2c_f32_f16 v105, v12, v134
	v_dot2c_f32_f16 v74, v12, v135
	v_dot2c_f32_f16 v73, v12, v136
	v_dot2c_f32_f16 v102, v13, v133
	v_dot2c_f32_f16 v101, v13, v134
	v_dot2c_f32_f16 v71, v13, v135
	v_dot2c_f32_f16 v72, v13, v136
	v_dot2c_f32_f16 v98, v14, v133
	v_dot2c_f32_f16 v97, v14, v134
	v_dot2c_f32_f16 v65, v14, v135
	v_dot2c_f32_f16 v66, v14, v136
	v_dot2c_f32_f16 v94, v15, v133
	v_dot2c_f32_f16 v93, v15, v134
	v_dot2c_f32_f16 v63, v15, v135
	v_dot2c_f32_f16 v64, v15, v136
	ds_read_b128 v[12:15], v109 offset:15104
	s_waitcnt lgkmcnt(4)
	v_dot2c_f32_f16 v92, v125, v121
	v_dot2c_f32_f16 v91, v125, v122
	;; [unrolled: 1-line block ×32, first 2 shown]
	ds_read_b128 v[121:124], v110 offset:31744
	ds_read_b128 v[125:128], v110 offset:32000
	s_waitcnt vmcnt(1)
	v_cndmask_b32_e64 v141, 0, v23, s3
	v_cndmask_b32_e64 v142, 0, v22, s3
	v_cndmask_b32_e64 v143, 0, v21, s3
	v_cndmask_b32_e64 v144, 0, v20, s3
	ds_read_b128 v[20:23], v109 offset:15616
	s_waitcnt lgkmcnt(5)
	v_dot2c_f32_f16 v108, v129, v8
	v_dot2c_f32_f16 v107, v129, v9
	;; [unrolled: 1-line block ×16, first 2 shown]
	s_waitcnt lgkmcnt(4)
	v_dot2c_f32_f16 v106, v129, v137
	v_dot2c_f32_f16 v105, v129, v138
	;; [unrolled: 1-line block ×16, first 2 shown]
	ds_read_b128 v[129:132], v110 offset:32256
	s_waitcnt lgkmcnt(4)
	v_dot2c_f32_f16 v92, v12, v8
	v_dot2c_f32_f16 v91, v12, v9
	v_dot2c_f32_f16 v46, v12, v10
	v_dot2c_f32_f16 v45, v12, v11
	v_dot2c_f32_f16 v87, v13, v8
	v_dot2c_f32_f16 v86, v13, v9
	v_dot2c_f32_f16 v52, v13, v10
	v_dot2c_f32_f16 v51, v13, v11
	v_dot2c_f32_f16 v79, v14, v8
	v_dot2c_f32_f16 v78, v14, v9
	v_dot2c_f32_f16 v54, v14, v10
	v_dot2c_f32_f16 v53, v14, v11
	v_dot2c_f32_f16 v75, v15, v8
	v_dot2c_f32_f16 v88, v15, v9
	v_dot2c_f32_f16 v59, v15, v10
	v_dot2c_f32_f16 v60, v15, v11
	ds_read_b128 v[8:11], v110 offset:32512
	v_dot2c_f32_f16 v90, v12, v137
	v_dot2c_f32_f16 v89, v12, v138
	;; [unrolled: 1-line block ×16, first 2 shown]
	ds_read_b128 v[12:15], v109 offset:15872
	ds_read_b128 v[133:136], v109 offset:16128
	ds_read_b128 v[137:140], v109 offset:15360
	s_waitcnt lgkmcnt(5)
	v_dot2c_f32_f16 v92, v20, v121
	v_dot2c_f32_f16 v91, v20, v122
	;; [unrolled: 1-line block ×19, first 2 shown]
	s_waitcnt lgkmcnt(0)
	v_dot2c_f32_f16 v108, v137, v121
	v_dot2c_f32_f16 v107, v137, v122
	;; [unrolled: 1-line block ×109, first 2 shown]
	ds_write2st64_b32 v113, v5, v4 offset0:64 offset1:66
	ds_write2st64_b32 v113, v1, v0 offset0:68 offset1:70
	;; [unrolled: 1-line block ×4, first 2 shown]
	s_waitcnt vmcnt(0)
	v_cndmask_b32_e64 v2, 0, v17, s2
	v_cndmask_b32_e64 v3, 0, v16, s2
	;; [unrolled: 1-line block ×4, first 2 shown]
	ds_write2st64_b32 v113, v144, v143 offset1:2
	ds_write2st64_b32 v113, v142, v141 offset0:4 offset1:6
	ds_write2st64_b32 v113, v3, v2 offset0:8 offset1:10
	;; [unrolled: 1-line block ×3, first 2 shown]
	s_cbranch_scc1 .LBB5_1
; %bb.2:
	v_add_nc_u32_e32 v0, 4, v24
	s_mul_i32 s1, s18, s64
	s_mul_hi_u32 s3, s18, s62
	s_mul_i32 s8, s19, s62
	s_add_i32 s1, s3, s1
	v_mul_lo_u32 v0, s63, v0
	s_mul_i32 s2, s18, s62
	s_add_i32 s3, s1, s8
	v_add_nc_u32_e32 v2, s66, v27
	s_lshl_b64 s[8:9], s[2:3], 1
	s_waitcnt lgkmcnt(0)
	s_barrier
	ds_read_b128 v[121:124], v110 offset:16384
	ds_read_b128 v[28:31], v110 offset:16640
	v_add3_u32 v8, s67, s61, v0
	v_add3_u32 v15, v0, v120, s61
	v_add_nc_u32_e32 v4, v2, v118
	v_cmp_gt_i32_e64 s1, s60, v2
	v_add_nc_u32_e32 v2, s55, v2
	v_mul_hi_u32 v1, v8, s47
	v_add_nc_u32_e32 v119, s65, v8
	v_cmp_gt_i32_e64 s3, s53, v8
	ds_read_b128 v[125:128], v109
	ds_read_b128 v[36:39], v109 offset:256
	ds_read_b128 v[129:132], v110 offset:16896
	;; [unrolled: 1-line block ×9, first 2 shown]
	v_add_nc_u32_e32 v1, v8, v1
	v_cmp_gt_i32_e64 s2, s60, v2
	s_load_dwordx2 s[4:5], s[4:5], 0x10
	s_mul_i32 s10, s16, s64
	s_mul_hi_u32 s13, s16, s62
	v_lshrrev_b32_e32 v9, s51, v1
	v_mul_hi_u32 v1, v119, s47
	s_add_u32 s12, s44, s8
	s_mul_i32 s7, s17, s62
	s_addc_u32 s11, s45, s9
	v_mul_hi_u32 v3, v9, s46
	v_mul_lo_u32 v11, v9, s49
	s_add_i32 s8, s13, s10
	s_mul_i32 s6, s16, s62
	v_add_nc_u32_e32 v1, v119, v1
	s_waitcnt lgkmcnt(0)
	v_dot2c_f32_f16 v108, v125, v121
	v_dot2c_f32_f16 v107, v125, v122
	;; [unrolled: 1-line block ×3, first 2 shown]
	v_add_nc_u32_e32 v3, v9, v3
	v_lshrrev_b32_e32 v12, s51, v1
	v_sub_nc_u32_e32 v8, v8, v11
	v_lshlrev_b32_e32 v1, 1, v4
	v_dot2c_f32_f16 v80, v125, v124
	v_lshrrev_b32_e32 v13, s50, v3
	v_mul_hi_u32 v10, v12, s46
	v_sub_nc_u32_e32 v15, v8, v15
	v_add_lshl_u32 v3, v4, s55, 1
	s_clause 0x1
	buffer_load_dwordx4 v[4:7], v1, s[28:31], 0 offen
	buffer_load_dwordx4 v[0:3], v3, s[28:31], 0 offen
	v_mul_lo_u32 v14, v13, s48
	v_add_nc_u32_e32 v10, v12, v10
	v_sub_nc_u32_e32 v116, v13, v116
	v_dot2c_f32_f16 v104, v126, v121
	v_dot2c_f32_f16 v103, v126, v122
	;; [unrolled: 1-line block ×4, first 2 shown]
	v_mul_lo_u32 v120, v116, s52
	v_sub_nc_u32_e32 v9, v9, v14
	v_lshrrev_b32_e32 v14, s50, v10
	v_dot2c_f32_f16 v100, v127, v121
	v_dot2c_f32_f16 v99, v127, v122
	;; [unrolled: 1-line block ×3, first 2 shown]
	v_sub_nc_u32_e32 v117, v9, v117
	v_mad_u64_u32 v[9:10], null, v14, s48, v[9:10]
	v_dot2c_f32_f16 v67, v127, v124
	v_dot2c_f32_f16 v96, v128, v121
	v_mul_lo_u32 v117, v117, s54
	v_dot2c_f32_f16 v95, v128, v122
	v_dot2c_f32_f16 v62, v128, v123
	v_dot2c_f32_f16 v61, v128, v124
	v_mad_u64_u32 v[10:11], null, v12, s49, v[8:9]
	v_sub_nc_u32_e32 v11, v14, v13
	v_sub_nc_u32_e32 v9, v12, v9
	v_mul_lo_u32 v8, v15, s23
	v_dot2c_f32_f16 v106, v125, v28
	v_dot2c_f32_f16 v105, v125, v29
	v_mul_lo_u32 v118, v11, s52
	v_mul_lo_u32 v116, v9, s54
	v_sub_nc_u32_e32 v10, v119, v10
	v_dot2c_f32_f16 v74, v125, v30
	v_dot2c_f32_f16 v73, v125, v31
	v_mad_u64_u32 v[8:9], null, v120, s21, v[8:9]
	v_mul_lo_u32 v9, v117, s22
	v_mul_lo_u32 v10, v10, s23
	;; [unrolled: 1-line block ×4, first 2 shown]
	v_dot2c_f32_f16 v102, v126, v28
	v_dot2c_f32_f16 v101, v126, v29
	;; [unrolled: 1-line block ×4, first 2 shown]
	v_add3_u32 v13, v8, v9, v44
	v_dot2c_f32_f16 v98, v127, v28
	v_dot2c_f32_f16 v97, v127, v29
	v_add3_u32 v12, v11, v10, v12
	v_dot2c_f32_f16 v65, v127, v30
	v_lshlrev_b32_e32 v8, 1, v13
	v_dot2c_f32_f16 v66, v127, v31
	v_dot2c_f32_f16 v94, v128, v28
	v_add_lshl_u32 v12, v12, v13, 1
	v_dot2c_f32_f16 v93, v128, v29
	buffer_load_dwordx4 v[8:11], v8, s[24:27], 0 offen
	v_dot2c_f32_f16 v63, v128, v30
	v_dot2c_f32_f16 v64, v128, v31
	buffer_load_dwordx4 v[12:15], v12, s[24:27], 0 offen
	v_dot2c_f32_f16 v92, v36, v121
	v_dot2c_f32_f16 v91, v36, v122
	;; [unrolled: 1-line block ×16, first 2 shown]
	ds_read_b128 v[121:124], v110 offset:17920
	ds_read_b128 v[125:128], v110 offset:18176
	v_dot2c_f32_f16 v90, v36, v28
	v_dot2c_f32_f16 v89, v36, v29
	v_dot2c_f32_f16 v48, v36, v30
	v_dot2c_f32_f16 v47, v36, v31
	v_dot2c_f32_f16 v85, v37, v28
	v_dot2c_f32_f16 v83, v37, v29
	v_dot2c_f32_f16 v50, v37, v30
	v_dot2c_f32_f16 v49, v37, v31
	v_dot2c_f32_f16 v77, v38, v28
	v_dot2c_f32_f16 v76, v38, v29
	v_dot2c_f32_f16 v56, v38, v30
	v_dot2c_f32_f16 v55, v38, v31
	v_dot2c_f32_f16 v84, v39, v28
	v_dot2c_f32_f16 v82, v39, v29
	v_dot2c_f32_f16 v57, v39, v30
	v_dot2c_f32_f16 v58, v39, v31
	ds_read_b128 v[28:31], v109 offset:1536
	ds_read_b128 v[36:39], v109 offset:1792
	v_dot2c_f32_f16 v108, v133, v129
	v_dot2c_f32_f16 v107, v133, v130
	;; [unrolled: 1-line block ×48, first 2 shown]
	ds_read_b128 v[129:132], v110 offset:18432
	ds_read_b128 v[133:136], v110 offset:18688
	v_dot2c_f32_f16 v90, v20, v16
	v_dot2c_f32_f16 v89, v20, v17
	;; [unrolled: 1-line block ×16, first 2 shown]
	ds_read_b128 v[16:19], v109 offset:2048
	ds_read_b128 v[20:23], v109 offset:2304
	v_dot2c_f32_f16 v104, v138, v24
	v_dot2c_f32_f16 v103, v138, v25
	;; [unrolled: 1-line block ×16, first 2 shown]
	s_waitcnt lgkmcnt(5)
	v_dot2c_f32_f16 v104, v29, v121
	v_dot2c_f32_f16 v103, v29, v122
	;; [unrolled: 1-line block ×32, first 2 shown]
	s_waitcnt lgkmcnt(1)
	v_dot2c_f32_f16 v104, v17, v129
	v_dot2c_f32_f16 v103, v17, v130
	;; [unrolled: 1-line block ×8, first 2 shown]
	v_add_nc_u32_e32 v17, v117, v114
	s_add_i32 s7, s8, s7
	v_dot2c_f32_f16 v108, v137, v24
	v_dot2c_f32_f16 v107, v137, v25
	;; [unrolled: 1-line block ×32, first 2 shown]
	v_add_nc_u32_e32 v18, v116, v17
	s_lshl_b64 s[6:7], s[6:7], 1
	v_dot2c_f32_f16 v87, v41, v24
	s_add_u32 s16, s4, s6
	s_addc_u32 s13, s5, s7
	v_dot2c_f32_f16 v86, v41, v25
	v_dot2c_f32_f16 v52, v41, v26
	;; [unrolled: 1-line block ×38, first 2 shown]
	v_cmp_gt_i32_e64 s7, s39, v17
	v_cmp_gt_i32_e64 s8, s39, v18
	v_cmp_le_i32_e64 s9, s59, v17
	v_cmp_le_i32_e64 s10, s59, v18
	v_dot2c_f32_f16 v64, v19, v136
	ds_read_b128 v[24:27], v109 offset:2560
	ds_read_b128 v[32:35], v109 offset:2816
	s_waitcnt lgkmcnt(2)
	v_dot2c_f32_f16 v92, v20, v129
	v_dot2c_f32_f16 v91, v20, v130
	;; [unrolled: 1-line block ×4, first 2 shown]
	ds_read_b128 v[28:31], v110 offset:18944
	v_dot2c_f32_f16 v90, v20, v133
	v_dot2c_f32_f16 v89, v20, v134
	;; [unrolled: 1-line block ×4, first 2 shown]
	ds_read_b128 v[17:20], v110 offset:19200
	v_dot2c_f32_f16 v87, v37, v121
	v_dot2c_f32_f16 v86, v37, v122
	;; [unrolled: 1-line block ×56, first 2 shown]
	s_waitcnt lgkmcnt(1)
	v_dot2c_f32_f16 v108, v24, v28
	v_dot2c_f32_f16 v107, v24, v29
	v_dot2c_f32_f16 v81, v24, v30
	v_dot2c_f32_f16 v80, v24, v31
	v_dot2c_f32_f16 v104, v25, v28
	v_dot2c_f32_f16 v103, v25, v29
	v_dot2c_f32_f16 v70, v25, v30
	v_dot2c_f32_f16 v69, v25, v31
	v_dot2c_f32_f16 v100, v26, v28
	v_dot2c_f32_f16 v99, v26, v29
	v_dot2c_f32_f16 v68, v26, v30
	v_dot2c_f32_f16 v67, v26, v31
	v_dot2c_f32_f16 v96, v27, v28
	v_dot2c_f32_f16 v95, v27, v29
	v_dot2c_f32_f16 v62, v27, v30
	v_dot2c_f32_f16 v61, v27, v31
	s_waitcnt lgkmcnt(0)
	v_dot2c_f32_f16 v106, v24, v17
	v_dot2c_f32_f16 v105, v24, v18
	;; [unrolled: 1-line block ×16, first 2 shown]
	ds_read_b128 v[21:24], v109 offset:3072
	v_dot2c_f32_f16 v92, v32, v28
	v_dot2c_f32_f16 v91, v32, v29
	;; [unrolled: 1-line block ×15, first 2 shown]
	ds_read_b128 v[25:28], v110 offset:19456
	v_dot2c_f32_f16 v60, v35, v31
	v_dot2c_f32_f16 v90, v32, v17
	;; [unrolled: 1-line block ×15, first 2 shown]
	ds_read_b128 v[29:32], v110 offset:19712
	v_dot2c_f32_f16 v57, v35, v19
	v_dot2c_f32_f16 v58, v35, v20
	ds_read_b128 v[17:20], v109 offset:3328
	s_waitcnt lgkmcnt(2)
	v_dot2c_f32_f16 v108, v21, v25
	v_dot2c_f32_f16 v107, v21, v26
	;; [unrolled: 1-line block ×16, first 2 shown]
	s_waitcnt lgkmcnt(1)
	v_dot2c_f32_f16 v106, v21, v29
	v_dot2c_f32_f16 v105, v21, v30
	v_dot2c_f32_f16 v74, v21, v31
	v_dot2c_f32_f16 v73, v21, v32
	v_dot2c_f32_f16 v102, v22, v29
	v_dot2c_f32_f16 v101, v22, v30
	v_dot2c_f32_f16 v71, v22, v31
	v_dot2c_f32_f16 v72, v22, v32
	v_dot2c_f32_f16 v98, v23, v29
	v_dot2c_f32_f16 v97, v23, v30
	v_dot2c_f32_f16 v65, v23, v31
	v_dot2c_f32_f16 v66, v23, v32
	v_dot2c_f32_f16 v94, v24, v29
	v_dot2c_f32_f16 v93, v24, v30
	v_dot2c_f32_f16 v63, v24, v31
	v_dot2c_f32_f16 v64, v24, v32
	ds_read_b128 v[21:24], v109 offset:3584
	s_waitcnt lgkmcnt(1)
	v_dot2c_f32_f16 v92, v17, v25
	v_dot2c_f32_f16 v91, v17, v26
	;; [unrolled: 1-line block ×15, first 2 shown]
	ds_read_b128 v[33:36], v110 offset:19968
	v_dot2c_f32_f16 v60, v20, v28
	v_dot2c_f32_f16 v90, v17, v29
	;; [unrolled: 1-line block ×15, first 2 shown]
	ds_read_b128 v[25:28], v110 offset:20224
	v_dot2c_f32_f16 v57, v20, v31
	v_dot2c_f32_f16 v58, v20, v32
	ds_read_b128 v[17:20], v109 offset:3840
	s_waitcnt lgkmcnt(2)
	v_dot2c_f32_f16 v108, v21, v33
	v_dot2c_f32_f16 v107, v21, v34
	;; [unrolled: 1-line block ×16, first 2 shown]
	s_waitcnt lgkmcnt(1)
	v_dot2c_f32_f16 v106, v21, v25
	v_dot2c_f32_f16 v105, v21, v26
	v_dot2c_f32_f16 v74, v21, v27
	v_dot2c_f32_f16 v73, v21, v28
	v_dot2c_f32_f16 v102, v22, v25
	v_dot2c_f32_f16 v101, v22, v26
	v_dot2c_f32_f16 v71, v22, v27
	v_dot2c_f32_f16 v72, v22, v28
	v_dot2c_f32_f16 v98, v23, v25
	v_dot2c_f32_f16 v97, v23, v26
	v_dot2c_f32_f16 v65, v23, v27
	v_dot2c_f32_f16 v66, v23, v28
	v_dot2c_f32_f16 v94, v24, v25
	v_dot2c_f32_f16 v93, v24, v26
	v_dot2c_f32_f16 v63, v24, v27
	v_dot2c_f32_f16 v64, v24, v28
	ds_read_b128 v[21:24], v109 offset:4096
	s_waitcnt lgkmcnt(1)
	v_dot2c_f32_f16 v92, v17, v33
	v_dot2c_f32_f16 v91, v17, v34
	;; [unrolled: 1-line block ×15, first 2 shown]
	ds_read_b128 v[29:32], v110 offset:20480
	v_dot2c_f32_f16 v60, v20, v36
	v_dot2c_f32_f16 v90, v17, v25
	;; [unrolled: 1-line block ×15, first 2 shown]
	ds_read_b128 v[33:36], v110 offset:20736
	v_dot2c_f32_f16 v57, v20, v27
	v_dot2c_f32_f16 v58, v20, v28
	ds_read_b128 v[17:20], v109 offset:4352
	s_waitcnt lgkmcnt(2)
	v_dot2c_f32_f16 v108, v21, v29
	v_dot2c_f32_f16 v107, v21, v30
	;; [unrolled: 1-line block ×16, first 2 shown]
	s_waitcnt lgkmcnt(1)
	v_dot2c_f32_f16 v106, v21, v33
	v_dot2c_f32_f16 v105, v21, v34
	;; [unrolled: 1-line block ×16, first 2 shown]
	ds_read_b128 v[21:24], v109 offset:4608
	s_waitcnt lgkmcnt(1)
	v_dot2c_f32_f16 v92, v17, v29
	v_dot2c_f32_f16 v91, v17, v30
	;; [unrolled: 1-line block ×15, first 2 shown]
	ds_read_b128 v[25:28], v110 offset:20992
	v_dot2c_f32_f16 v60, v20, v32
	v_dot2c_f32_f16 v90, v17, v33
	;; [unrolled: 1-line block ×15, first 2 shown]
	ds_read_b128 v[29:32], v110 offset:21248
	v_dot2c_f32_f16 v57, v20, v35
	v_dot2c_f32_f16 v58, v20, v36
	ds_read_b128 v[17:20], v109 offset:4864
	s_waitcnt lgkmcnt(2)
	v_dot2c_f32_f16 v108, v21, v25
	v_dot2c_f32_f16 v107, v21, v26
	;; [unrolled: 1-line block ×16, first 2 shown]
	s_waitcnt lgkmcnt(1)
	v_dot2c_f32_f16 v106, v21, v29
	v_dot2c_f32_f16 v105, v21, v30
	;; [unrolled: 1-line block ×16, first 2 shown]
	ds_read_b128 v[21:24], v109 offset:5120
	s_waitcnt lgkmcnt(1)
	v_dot2c_f32_f16 v92, v17, v25
	v_dot2c_f32_f16 v91, v17, v26
	;; [unrolled: 1-line block ×15, first 2 shown]
	ds_read_b128 v[33:36], v110 offset:21504
	v_dot2c_f32_f16 v60, v20, v28
	v_dot2c_f32_f16 v90, v17, v29
	;; [unrolled: 1-line block ×15, first 2 shown]
	ds_read_b128 v[25:28], v110 offset:21760
	v_dot2c_f32_f16 v57, v20, v31
	v_dot2c_f32_f16 v58, v20, v32
	ds_read_b128 v[17:20], v109 offset:5376
	s_waitcnt lgkmcnt(2)
	v_dot2c_f32_f16 v108, v21, v33
	v_dot2c_f32_f16 v107, v21, v34
	v_dot2c_f32_f16 v81, v21, v35
	v_dot2c_f32_f16 v80, v21, v36
	v_dot2c_f32_f16 v104, v22, v33
	v_dot2c_f32_f16 v103, v22, v34
	v_dot2c_f32_f16 v70, v22, v35
	v_dot2c_f32_f16 v69, v22, v36
	v_dot2c_f32_f16 v100, v23, v33
	v_dot2c_f32_f16 v99, v23, v34
	v_dot2c_f32_f16 v68, v23, v35
	v_dot2c_f32_f16 v67, v23, v36
	v_dot2c_f32_f16 v96, v24, v33
	v_dot2c_f32_f16 v95, v24, v34
	v_dot2c_f32_f16 v62, v24, v35
	v_dot2c_f32_f16 v61, v24, v36
	s_waitcnt lgkmcnt(1)
	v_dot2c_f32_f16 v106, v21, v25
	v_dot2c_f32_f16 v105, v21, v26
	;; [unrolled: 1-line block ×16, first 2 shown]
	ds_read_b128 v[21:24], v109 offset:5632
	s_waitcnt lgkmcnt(1)
	v_dot2c_f32_f16 v92, v17, v33
	v_dot2c_f32_f16 v91, v17, v34
	;; [unrolled: 1-line block ×15, first 2 shown]
	ds_read_b128 v[29:32], v110 offset:22016
	v_dot2c_f32_f16 v60, v20, v36
	v_dot2c_f32_f16 v90, v17, v25
	;; [unrolled: 1-line block ×15, first 2 shown]
	ds_read_b128 v[33:36], v110 offset:22272
	v_dot2c_f32_f16 v57, v20, v27
	v_dot2c_f32_f16 v58, v20, v28
	ds_read_b128 v[17:20], v109 offset:5888
	s_waitcnt lgkmcnt(2)
	v_dot2c_f32_f16 v108, v21, v29
	v_dot2c_f32_f16 v107, v21, v30
	;; [unrolled: 1-line block ×16, first 2 shown]
	s_waitcnt lgkmcnt(1)
	v_dot2c_f32_f16 v106, v21, v33
	v_dot2c_f32_f16 v105, v21, v34
	;; [unrolled: 1-line block ×16, first 2 shown]
	ds_read_b128 v[21:24], v109 offset:6144
	s_waitcnt lgkmcnt(1)
	v_dot2c_f32_f16 v92, v17, v29
	v_dot2c_f32_f16 v91, v17, v30
	;; [unrolled: 1-line block ×15, first 2 shown]
	ds_read_b128 v[25:28], v110 offset:22528
	v_dot2c_f32_f16 v60, v20, v32
	v_dot2c_f32_f16 v90, v17, v33
	;; [unrolled: 1-line block ×15, first 2 shown]
	ds_read_b128 v[29:32], v110 offset:22784
	v_dot2c_f32_f16 v57, v20, v35
	v_dot2c_f32_f16 v58, v20, v36
	ds_read_b128 v[17:20], v109 offset:6400
	s_waitcnt lgkmcnt(2)
	v_dot2c_f32_f16 v108, v21, v25
	v_dot2c_f32_f16 v107, v21, v26
	;; [unrolled: 1-line block ×16, first 2 shown]
	s_waitcnt lgkmcnt(1)
	v_dot2c_f32_f16 v106, v21, v29
	v_dot2c_f32_f16 v105, v21, v30
	;; [unrolled: 1-line block ×16, first 2 shown]
	ds_read_b128 v[21:24], v109 offset:6656
	s_waitcnt lgkmcnt(1)
	v_dot2c_f32_f16 v92, v17, v25
	v_dot2c_f32_f16 v91, v17, v26
	;; [unrolled: 1-line block ×15, first 2 shown]
	ds_read_b128 v[33:36], v110 offset:23040
	v_dot2c_f32_f16 v60, v20, v28
	v_dot2c_f32_f16 v90, v17, v29
	;; [unrolled: 1-line block ×15, first 2 shown]
	ds_read_b128 v[25:28], v110 offset:23296
	v_dot2c_f32_f16 v57, v20, v31
	v_dot2c_f32_f16 v58, v20, v32
	ds_read_b128 v[17:20], v109 offset:6912
	s_waitcnt lgkmcnt(2)
	v_dot2c_f32_f16 v108, v21, v33
	v_dot2c_f32_f16 v107, v21, v34
	;; [unrolled: 1-line block ×16, first 2 shown]
	s_waitcnt lgkmcnt(1)
	v_dot2c_f32_f16 v106, v21, v25
	v_dot2c_f32_f16 v105, v21, v26
	;; [unrolled: 1-line block ×16, first 2 shown]
	ds_read_b128 v[21:24], v109 offset:7168
	s_waitcnt lgkmcnt(1)
	v_dot2c_f32_f16 v92, v17, v33
	v_dot2c_f32_f16 v91, v17, v34
	;; [unrolled: 1-line block ×15, first 2 shown]
	ds_read_b128 v[29:32], v110 offset:23552
	v_dot2c_f32_f16 v60, v20, v36
	v_dot2c_f32_f16 v90, v17, v25
	;; [unrolled: 1-line block ×15, first 2 shown]
	ds_read_b128 v[33:36], v110 offset:23808
	v_dot2c_f32_f16 v57, v20, v27
	v_dot2c_f32_f16 v58, v20, v28
	ds_read_b128 v[17:20], v109 offset:7424
	v_add_nc_u32_e32 v16, v120, v115
	v_cmp_gt_i32_e64 s4, s53, v119
	s_and_b32 s3, s7, s3
	s_and_b32 s1, s0, s1
	;; [unrolled: 1-line block ×3, first 2 shown]
	v_cmp_le_i32_e64 s5, s58, v16
	v_cmp_gt_i32_e64 s6, s43, v16
	v_add_nc_u32_e32 v16, v118, v16
	s_and_b32 s4, s8, s4
	s_and_b32 s0, s0, s2
	;; [unrolled: 1-line block ×4, first 2 shown]
	v_cmp_le_i32_e64 s5, s58, v16
	v_cmp_gt_i32_e64 s6, s43, v16
	s_and_b32 s3, s14, s3
	s_waitcnt vmcnt(2)
	v_cndmask_b32_e64 v3, 0, v3, s0
	v_cndmask_b32_e64 v2, 0, v2, s0
	;; [unrolled: 1-line block ×3, first 2 shown]
	s_and_b32 s5, s5, s6
	v_cndmask_b32_e64 v0, 0, v0, s0
	s_and_b32 s4, s5, s4
	s_and_b32 s0, vcc_lo, s3
	s_and_b32 vcc_lo, vcc_lo, s4
	s_waitcnt vmcnt(1)
	v_cndmask_b32_e64 v9, 0, v9, s0
	v_cndmask_b32_e64 v16, 0, v8, s0
	s_waitcnt lgkmcnt(2)
	v_dot2c_f32_f16 v108, v21, v29
	v_dot2c_f32_f16 v107, v21, v30
	;; [unrolled: 1-line block ×16, first 2 shown]
	s_waitcnt lgkmcnt(1)
	v_dot2c_f32_f16 v106, v21, v33
	v_dot2c_f32_f16 v105, v21, v34
	;; [unrolled: 1-line block ×16, first 2 shown]
	ds_read_b128 v[21:24], v109 offset:7680
	s_waitcnt lgkmcnt(1)
	v_dot2c_f32_f16 v92, v17, v29
	v_dot2c_f32_f16 v91, v17, v30
	;; [unrolled: 1-line block ×15, first 2 shown]
	ds_read_b128 v[25:28], v110 offset:24064
	v_dot2c_f32_f16 v60, v20, v32
	v_dot2c_f32_f16 v90, v17, v33
	;; [unrolled: 1-line block ×15, first 2 shown]
	ds_read_b128 v[29:32], v110 offset:24320
	v_dot2c_f32_f16 v57, v20, v35
	v_dot2c_f32_f16 v58, v20, v36
	ds_read_b128 v[17:20], v109 offset:7936
	v_cndmask_b32_e64 v11, 0, v11, s0
	v_cndmask_b32_e64 v10, 0, v10, s0
	s_waitcnt vmcnt(0)
	v_cndmask_b32_e32 v13, 0, v13, vcc_lo
	v_cndmask_b32_e32 v12, 0, v12, vcc_lo
	;; [unrolled: 1-line block ×4, first 2 shown]
	v_cndmask_b32_e64 v7, 0, v7, s1
	v_cndmask_b32_e64 v6, 0, v6, s1
	v_cndmask_b32_e64 v5, 0, v5, s1
	v_cndmask_b32_e64 v4, 0, v4, s1
	ds_write2st64_b32 v113, v16, v9 offset0:32 offset1:34
	ds_write2st64_b32 v113, v10, v11 offset0:36 offset1:38
	;; [unrolled: 1-line block ×8, first 2 shown]
	s_waitcnt lgkmcnt(0)
	s_barrier
	ds_read_b128 v[0:3], v109 offset:8192
	ds_read_b128 v[4:7], v110 offset:24576
	ds_read_b128 v[8:11], v110 offset:24832
	ds_read_b128 v[12:15], v109 offset:8448
	v_dot2c_f32_f16 v108, v21, v25
	v_dot2c_f32_f16 v107, v21, v26
	;; [unrolled: 1-line block ×64, first 2 shown]
	s_waitcnt lgkmcnt(2)
	v_dot2c_f32_f16 v108, v0, v4
	v_dot2c_f32_f16 v107, v0, v5
	;; [unrolled: 1-line block ×16, first 2 shown]
	ds_read_b128 v[16:19], v110 offset:25088
	s_waitcnt lgkmcnt(2)
	v_dot2c_f32_f16 v106, v0, v8
	v_dot2c_f32_f16 v105, v0, v9
	;; [unrolled: 1-line block ×16, first 2 shown]
	ds_read_b128 v[0:3], v109 offset:8704
	s_waitcnt lgkmcnt(2)
	v_dot2c_f32_f16 v92, v12, v4
	v_dot2c_f32_f16 v91, v12, v5
	;; [unrolled: 1-line block ×30, first 2 shown]
	ds_read_b128 v[4:7], v110 offset:25344
	v_dot2c_f32_f16 v57, v15, v10
	v_dot2c_f32_f16 v58, v15, v11
	ds_read_b128 v[8:11], v109 offset:8960
	s_waitcnt lgkmcnt(2)
	v_dot2c_f32_f16 v108, v0, v16
	v_dot2c_f32_f16 v107, v0, v17
	v_dot2c_f32_f16 v81, v0, v18
	v_dot2c_f32_f16 v80, v0, v19
	v_dot2c_f32_f16 v104, v1, v16
	v_dot2c_f32_f16 v103, v1, v17
	v_dot2c_f32_f16 v70, v1, v18
	v_dot2c_f32_f16 v69, v1, v19
	v_dot2c_f32_f16 v100, v2, v16
	v_dot2c_f32_f16 v99, v2, v17
	v_dot2c_f32_f16 v68, v2, v18
	v_dot2c_f32_f16 v67, v2, v19
	v_dot2c_f32_f16 v96, v3, v16
	v_dot2c_f32_f16 v95, v3, v17
	v_dot2c_f32_f16 v62, v3, v18
	v_dot2c_f32_f16 v61, v3, v19
	ds_read_b128 v[12:15], v110 offset:25600
	s_waitcnt lgkmcnt(2)
	v_dot2c_f32_f16 v106, v0, v4
	v_dot2c_f32_f16 v105, v0, v5
	v_dot2c_f32_f16 v74, v0, v6
	v_dot2c_f32_f16 v73, v0, v7
	v_dot2c_f32_f16 v102, v1, v4
	v_dot2c_f32_f16 v101, v1, v5
	v_dot2c_f32_f16 v71, v1, v6
	v_dot2c_f32_f16 v72, v1, v7
	v_dot2c_f32_f16 v98, v2, v4
	v_dot2c_f32_f16 v97, v2, v5
	v_dot2c_f32_f16 v65, v2, v6
	v_dot2c_f32_f16 v66, v2, v7
	v_dot2c_f32_f16 v94, v3, v4
	v_dot2c_f32_f16 v93, v3, v5
	;; [unrolled: 18-line block ×3, first 2 shown]
	v_dot2c_f32_f16 v59, v11, v18
	v_dot2c_f32_f16 v60, v11, v19
	;; [unrolled: 1-line block ×16, first 2 shown]
	ds_read_b128 v[16:19], v110 offset:25856
	v_dot2c_f32_f16 v57, v11, v6
	v_dot2c_f32_f16 v58, v11, v7
	ds_read_b128 v[4:7], v109 offset:9472
	s_waitcnt lgkmcnt(2)
	v_dot2c_f32_f16 v108, v0, v12
	v_dot2c_f32_f16 v107, v0, v13
	v_dot2c_f32_f16 v81, v0, v14
	v_dot2c_f32_f16 v80, v0, v15
	v_dot2c_f32_f16 v104, v1, v12
	v_dot2c_f32_f16 v103, v1, v13
	v_dot2c_f32_f16 v70, v1, v14
	v_dot2c_f32_f16 v69, v1, v15
	v_dot2c_f32_f16 v100, v2, v12
	v_dot2c_f32_f16 v99, v2, v13
	v_dot2c_f32_f16 v68, v2, v14
	v_dot2c_f32_f16 v67, v2, v15
	v_dot2c_f32_f16 v96, v3, v12
	v_dot2c_f32_f16 v95, v3, v13
	v_dot2c_f32_f16 v62, v3, v14
	v_dot2c_f32_f16 v61, v3, v15
	ds_read_b128 v[8:11], v110 offset:26112
	s_waitcnt lgkmcnt(2)
	v_dot2c_f32_f16 v106, v0, v16
	v_dot2c_f32_f16 v105, v0, v17
	v_dot2c_f32_f16 v74, v0, v18
	v_dot2c_f32_f16 v73, v0, v19
	v_dot2c_f32_f16 v102, v1, v16
	v_dot2c_f32_f16 v101, v1, v17
	v_dot2c_f32_f16 v71, v1, v18
	v_dot2c_f32_f16 v72, v1, v19
	v_dot2c_f32_f16 v98, v2, v16
	v_dot2c_f32_f16 v97, v2, v17
	v_dot2c_f32_f16 v65, v2, v18
	v_dot2c_f32_f16 v66, v2, v19
	v_dot2c_f32_f16 v94, v3, v16
	v_dot2c_f32_f16 v93, v3, v17
	;; [unrolled: 18-line block ×3, first 2 shown]
	v_dot2c_f32_f16 v59, v7, v14
	v_dot2c_f32_f16 v60, v7, v15
	;; [unrolled: 1-line block ×16, first 2 shown]
	ds_read_b128 v[12:15], v110 offset:26368
	v_dot2c_f32_f16 v57, v7, v18
	v_dot2c_f32_f16 v58, v7, v19
	ds_read_b128 v[4:7], v109 offset:9984
	s_waitcnt lgkmcnt(2)
	v_dot2c_f32_f16 v108, v0, v8
	v_dot2c_f32_f16 v107, v0, v9
	v_dot2c_f32_f16 v81, v0, v10
	v_dot2c_f32_f16 v80, v0, v11
	v_dot2c_f32_f16 v104, v1, v8
	v_dot2c_f32_f16 v103, v1, v9
	v_dot2c_f32_f16 v70, v1, v10
	v_dot2c_f32_f16 v69, v1, v11
	v_dot2c_f32_f16 v100, v2, v8
	v_dot2c_f32_f16 v99, v2, v9
	v_dot2c_f32_f16 v68, v2, v10
	v_dot2c_f32_f16 v67, v2, v11
	v_dot2c_f32_f16 v96, v3, v8
	v_dot2c_f32_f16 v95, v3, v9
	v_dot2c_f32_f16 v62, v3, v10
	v_dot2c_f32_f16 v61, v3, v11
	ds_read_b128 v[16:19], v110 offset:26624
	s_waitcnt lgkmcnt(2)
	v_dot2c_f32_f16 v106, v0, v12
	v_dot2c_f32_f16 v105, v0, v13
	v_dot2c_f32_f16 v74, v0, v14
	v_dot2c_f32_f16 v73, v0, v15
	v_dot2c_f32_f16 v102, v1, v12
	v_dot2c_f32_f16 v101, v1, v13
	v_dot2c_f32_f16 v71, v1, v14
	v_dot2c_f32_f16 v72, v1, v15
	v_dot2c_f32_f16 v98, v2, v12
	v_dot2c_f32_f16 v97, v2, v13
	v_dot2c_f32_f16 v65, v2, v14
	v_dot2c_f32_f16 v66, v2, v15
	v_dot2c_f32_f16 v94, v3, v12
	v_dot2c_f32_f16 v93, v3, v13
	;; [unrolled: 18-line block ×3, first 2 shown]
	v_dot2c_f32_f16 v59, v7, v10
	v_dot2c_f32_f16 v60, v7, v11
	;; [unrolled: 1-line block ×16, first 2 shown]
	ds_read_b128 v[8:11], v110 offset:26880
	v_dot2c_f32_f16 v57, v7, v14
	v_dot2c_f32_f16 v58, v7, v15
	ds_read_b128 v[4:7], v109 offset:10496
	s_waitcnt lgkmcnt(2)
	v_dot2c_f32_f16 v108, v0, v16
	v_dot2c_f32_f16 v107, v0, v17
	v_dot2c_f32_f16 v81, v0, v18
	v_dot2c_f32_f16 v80, v0, v19
	v_dot2c_f32_f16 v104, v1, v16
	v_dot2c_f32_f16 v103, v1, v17
	v_dot2c_f32_f16 v70, v1, v18
	v_dot2c_f32_f16 v69, v1, v19
	v_dot2c_f32_f16 v100, v2, v16
	v_dot2c_f32_f16 v99, v2, v17
	v_dot2c_f32_f16 v68, v2, v18
	v_dot2c_f32_f16 v67, v2, v19
	v_dot2c_f32_f16 v96, v3, v16
	v_dot2c_f32_f16 v95, v3, v17
	v_dot2c_f32_f16 v62, v3, v18
	v_dot2c_f32_f16 v61, v3, v19
	ds_read_b128 v[12:15], v110 offset:27136
	s_waitcnt lgkmcnt(2)
	v_dot2c_f32_f16 v106, v0, v8
	v_dot2c_f32_f16 v105, v0, v9
	v_dot2c_f32_f16 v74, v0, v10
	v_dot2c_f32_f16 v73, v0, v11
	v_dot2c_f32_f16 v102, v1, v8
	v_dot2c_f32_f16 v101, v1, v9
	v_dot2c_f32_f16 v71, v1, v10
	v_dot2c_f32_f16 v72, v1, v11
	v_dot2c_f32_f16 v98, v2, v8
	v_dot2c_f32_f16 v97, v2, v9
	v_dot2c_f32_f16 v65, v2, v10
	v_dot2c_f32_f16 v66, v2, v11
	v_dot2c_f32_f16 v94, v3, v8
	v_dot2c_f32_f16 v93, v3, v9
	;; [unrolled: 18-line block ×3, first 2 shown]
	v_dot2c_f32_f16 v59, v7, v18
	v_dot2c_f32_f16 v60, v7, v19
	;; [unrolled: 1-line block ×16, first 2 shown]
	ds_read_b128 v[16:19], v110 offset:27392
	v_dot2c_f32_f16 v57, v7, v10
	v_dot2c_f32_f16 v58, v7, v11
	ds_read_b128 v[4:7], v109 offset:11008
	s_waitcnt lgkmcnt(2)
	v_dot2c_f32_f16 v108, v0, v12
	v_dot2c_f32_f16 v107, v0, v13
	v_dot2c_f32_f16 v81, v0, v14
	v_dot2c_f32_f16 v80, v0, v15
	v_dot2c_f32_f16 v104, v1, v12
	v_dot2c_f32_f16 v103, v1, v13
	v_dot2c_f32_f16 v70, v1, v14
	v_dot2c_f32_f16 v69, v1, v15
	v_dot2c_f32_f16 v100, v2, v12
	v_dot2c_f32_f16 v99, v2, v13
	v_dot2c_f32_f16 v68, v2, v14
	v_dot2c_f32_f16 v67, v2, v15
	v_dot2c_f32_f16 v96, v3, v12
	v_dot2c_f32_f16 v95, v3, v13
	v_dot2c_f32_f16 v62, v3, v14
	v_dot2c_f32_f16 v61, v3, v15
	ds_read_b128 v[8:11], v110 offset:27648
	s_waitcnt lgkmcnt(2)
	v_dot2c_f32_f16 v106, v0, v16
	v_dot2c_f32_f16 v105, v0, v17
	v_dot2c_f32_f16 v74, v0, v18
	v_dot2c_f32_f16 v73, v0, v19
	v_dot2c_f32_f16 v102, v1, v16
	v_dot2c_f32_f16 v101, v1, v17
	v_dot2c_f32_f16 v71, v1, v18
	v_dot2c_f32_f16 v72, v1, v19
	v_dot2c_f32_f16 v98, v2, v16
	v_dot2c_f32_f16 v97, v2, v17
	v_dot2c_f32_f16 v65, v2, v18
	v_dot2c_f32_f16 v66, v2, v19
	v_dot2c_f32_f16 v94, v3, v16
	v_dot2c_f32_f16 v93, v3, v17
	;; [unrolled: 18-line block ×3, first 2 shown]
	v_dot2c_f32_f16 v59, v7, v14
	v_dot2c_f32_f16 v60, v7, v15
	;; [unrolled: 1-line block ×16, first 2 shown]
	ds_read_b128 v[12:15], v110 offset:27904
	v_dot2c_f32_f16 v57, v7, v18
	v_dot2c_f32_f16 v58, v7, v19
	ds_read_b128 v[4:7], v109 offset:11520
	s_waitcnt lgkmcnt(2)
	v_dot2c_f32_f16 v108, v0, v8
	v_dot2c_f32_f16 v107, v0, v9
	v_dot2c_f32_f16 v81, v0, v10
	v_dot2c_f32_f16 v80, v0, v11
	v_dot2c_f32_f16 v104, v1, v8
	v_dot2c_f32_f16 v103, v1, v9
	v_dot2c_f32_f16 v70, v1, v10
	v_dot2c_f32_f16 v69, v1, v11
	v_dot2c_f32_f16 v100, v2, v8
	v_dot2c_f32_f16 v99, v2, v9
	v_dot2c_f32_f16 v68, v2, v10
	v_dot2c_f32_f16 v67, v2, v11
	v_dot2c_f32_f16 v96, v3, v8
	v_dot2c_f32_f16 v95, v3, v9
	v_dot2c_f32_f16 v62, v3, v10
	v_dot2c_f32_f16 v61, v3, v11
	ds_read_b128 v[16:19], v110 offset:28160
	s_waitcnt lgkmcnt(2)
	v_dot2c_f32_f16 v106, v0, v12
	v_dot2c_f32_f16 v105, v0, v13
	v_dot2c_f32_f16 v74, v0, v14
	v_dot2c_f32_f16 v73, v0, v15
	v_dot2c_f32_f16 v102, v1, v12
	v_dot2c_f32_f16 v101, v1, v13
	v_dot2c_f32_f16 v71, v1, v14
	v_dot2c_f32_f16 v72, v1, v15
	v_dot2c_f32_f16 v98, v2, v12
	v_dot2c_f32_f16 v97, v2, v13
	v_dot2c_f32_f16 v65, v2, v14
	v_dot2c_f32_f16 v66, v2, v15
	v_dot2c_f32_f16 v94, v3, v12
	v_dot2c_f32_f16 v93, v3, v13
	;; [unrolled: 18-line block ×3, first 2 shown]
	v_dot2c_f32_f16 v59, v7, v10
	v_dot2c_f32_f16 v60, v7, v11
	;; [unrolled: 1-line block ×16, first 2 shown]
	ds_read_b128 v[8:11], v110 offset:28416
	v_dot2c_f32_f16 v57, v7, v14
	v_dot2c_f32_f16 v58, v7, v15
	ds_read_b128 v[4:7], v109 offset:12032
	s_waitcnt lgkmcnt(2)
	v_dot2c_f32_f16 v108, v0, v16
	v_dot2c_f32_f16 v107, v0, v17
	v_dot2c_f32_f16 v81, v0, v18
	v_dot2c_f32_f16 v80, v0, v19
	v_dot2c_f32_f16 v104, v1, v16
	v_dot2c_f32_f16 v103, v1, v17
	v_dot2c_f32_f16 v70, v1, v18
	v_dot2c_f32_f16 v69, v1, v19
	v_dot2c_f32_f16 v100, v2, v16
	v_dot2c_f32_f16 v99, v2, v17
	v_dot2c_f32_f16 v68, v2, v18
	v_dot2c_f32_f16 v67, v2, v19
	v_dot2c_f32_f16 v96, v3, v16
	v_dot2c_f32_f16 v95, v3, v17
	v_dot2c_f32_f16 v62, v3, v18
	v_dot2c_f32_f16 v61, v3, v19
	ds_read_b128 v[12:15], v110 offset:28672
	s_waitcnt lgkmcnt(2)
	v_dot2c_f32_f16 v106, v0, v8
	v_dot2c_f32_f16 v105, v0, v9
	v_dot2c_f32_f16 v74, v0, v10
	v_dot2c_f32_f16 v73, v0, v11
	v_dot2c_f32_f16 v102, v1, v8
	v_dot2c_f32_f16 v101, v1, v9
	v_dot2c_f32_f16 v71, v1, v10
	v_dot2c_f32_f16 v72, v1, v11
	v_dot2c_f32_f16 v98, v2, v8
	v_dot2c_f32_f16 v97, v2, v9
	v_dot2c_f32_f16 v65, v2, v10
	v_dot2c_f32_f16 v66, v2, v11
	v_dot2c_f32_f16 v94, v3, v8
	v_dot2c_f32_f16 v93, v3, v9
	;; [unrolled: 18-line block ×3, first 2 shown]
	v_dot2c_f32_f16 v59, v7, v18
	v_dot2c_f32_f16 v60, v7, v19
	;; [unrolled: 1-line block ×16, first 2 shown]
	ds_read_b128 v[16:19], v110 offset:28928
	v_dot2c_f32_f16 v57, v7, v10
	v_dot2c_f32_f16 v58, v7, v11
	ds_read_b128 v[4:7], v109 offset:12544
	s_waitcnt lgkmcnt(2)
	v_dot2c_f32_f16 v108, v0, v12
	v_dot2c_f32_f16 v107, v0, v13
	v_dot2c_f32_f16 v81, v0, v14
	v_dot2c_f32_f16 v80, v0, v15
	v_dot2c_f32_f16 v104, v1, v12
	v_dot2c_f32_f16 v103, v1, v13
	v_dot2c_f32_f16 v70, v1, v14
	v_dot2c_f32_f16 v69, v1, v15
	v_dot2c_f32_f16 v100, v2, v12
	v_dot2c_f32_f16 v99, v2, v13
	v_dot2c_f32_f16 v68, v2, v14
	v_dot2c_f32_f16 v67, v2, v15
	v_dot2c_f32_f16 v96, v3, v12
	v_dot2c_f32_f16 v95, v3, v13
	v_dot2c_f32_f16 v62, v3, v14
	v_dot2c_f32_f16 v61, v3, v15
	ds_read_b128 v[8:11], v110 offset:29184
	s_waitcnt lgkmcnt(2)
	v_dot2c_f32_f16 v106, v0, v16
	v_dot2c_f32_f16 v105, v0, v17
	v_dot2c_f32_f16 v74, v0, v18
	v_dot2c_f32_f16 v73, v0, v19
	v_dot2c_f32_f16 v102, v1, v16
	v_dot2c_f32_f16 v101, v1, v17
	v_dot2c_f32_f16 v71, v1, v18
	v_dot2c_f32_f16 v72, v1, v19
	v_dot2c_f32_f16 v98, v2, v16
	v_dot2c_f32_f16 v97, v2, v17
	v_dot2c_f32_f16 v65, v2, v18
	v_dot2c_f32_f16 v66, v2, v19
	v_dot2c_f32_f16 v94, v3, v16
	v_dot2c_f32_f16 v93, v3, v17
	;; [unrolled: 18-line block ×3, first 2 shown]
	v_dot2c_f32_f16 v59, v7, v14
	v_dot2c_f32_f16 v60, v7, v15
	;; [unrolled: 1-line block ×16, first 2 shown]
	ds_read_b128 v[12:15], v110 offset:29440
	v_dot2c_f32_f16 v57, v7, v18
	v_dot2c_f32_f16 v58, v7, v19
	ds_read_b128 v[4:7], v109 offset:13056
	s_waitcnt lgkmcnt(2)
	v_dot2c_f32_f16 v108, v0, v8
	v_dot2c_f32_f16 v107, v0, v9
	v_dot2c_f32_f16 v81, v0, v10
	v_dot2c_f32_f16 v80, v0, v11
	v_dot2c_f32_f16 v104, v1, v8
	v_dot2c_f32_f16 v103, v1, v9
	v_dot2c_f32_f16 v70, v1, v10
	v_dot2c_f32_f16 v69, v1, v11
	v_dot2c_f32_f16 v100, v2, v8
	v_dot2c_f32_f16 v99, v2, v9
	v_dot2c_f32_f16 v68, v2, v10
	v_dot2c_f32_f16 v67, v2, v11
	v_dot2c_f32_f16 v96, v3, v8
	v_dot2c_f32_f16 v95, v3, v9
	v_dot2c_f32_f16 v62, v3, v10
	v_dot2c_f32_f16 v61, v3, v11
	ds_read_b128 v[16:19], v110 offset:29696
	s_waitcnt lgkmcnt(2)
	v_dot2c_f32_f16 v106, v0, v12
	v_dot2c_f32_f16 v105, v0, v13
	v_dot2c_f32_f16 v74, v0, v14
	v_dot2c_f32_f16 v73, v0, v15
	v_dot2c_f32_f16 v102, v1, v12
	v_dot2c_f32_f16 v101, v1, v13
	v_dot2c_f32_f16 v71, v1, v14
	v_dot2c_f32_f16 v72, v1, v15
	v_dot2c_f32_f16 v98, v2, v12
	v_dot2c_f32_f16 v97, v2, v13
	v_dot2c_f32_f16 v65, v2, v14
	v_dot2c_f32_f16 v66, v2, v15
	v_dot2c_f32_f16 v94, v3, v12
	v_dot2c_f32_f16 v93, v3, v13
	;; [unrolled: 18-line block ×3, first 2 shown]
	v_dot2c_f32_f16 v59, v7, v10
	v_dot2c_f32_f16 v60, v7, v11
	ds_read_b128 v[8:11], v110 offset:29952
	ds_read_b128 v[20:23], v109 offset:13568
	v_dot2c_f32_f16 v90, v4, v12
	v_dot2c_f32_f16 v89, v4, v13
	;; [unrolled: 1-line block ×16, first 2 shown]
	s_waitcnt lgkmcnt(2)
	v_dot2c_f32_f16 v108, v0, v16
	v_dot2c_f32_f16 v107, v0, v17
	;; [unrolled: 1-line block ×16, first 2 shown]
	ds_read_b128 v[12:15], v110 offset:30208
	s_waitcnt lgkmcnt(2)
	v_dot2c_f32_f16 v106, v0, v8
	v_dot2c_f32_f16 v105, v0, v9
	v_dot2c_f32_f16 v74, v0, v10
	v_dot2c_f32_f16 v73, v0, v11
	v_dot2c_f32_f16 v102, v1, v8
	v_dot2c_f32_f16 v101, v1, v9
	v_dot2c_f32_f16 v71, v1, v10
	v_dot2c_f32_f16 v72, v1, v11
	v_dot2c_f32_f16 v98, v2, v8
	v_dot2c_f32_f16 v97, v2, v9
	v_dot2c_f32_f16 v65, v2, v10
	v_dot2c_f32_f16 v66, v2, v11
	v_dot2c_f32_f16 v94, v3, v8
	v_dot2c_f32_f16 v93, v3, v9
	v_dot2c_f32_f16 v63, v3, v10
	v_dot2c_f32_f16 v64, v3, v11
	ds_read_b128 v[0:3], v109 offset:13824
	s_waitcnt lgkmcnt(2)
	v_dot2c_f32_f16 v92, v20, v16
	v_dot2c_f32_f16 v87, v21, v16
	;; [unrolled: 1-line block ×4, first 2 shown]
	v_lshl_or_b32 v16, s56, 7, v112
	v_dot2c_f32_f16 v90, v20, v8
	v_dot2c_f32_f16 v89, v20, v9
	;; [unrolled: 1-line block ×14, first 2 shown]
	ds_read_b128 v[4:7], v110 offset:30464
	v_dot2c_f32_f16 v57, v23, v10
	v_dot2c_f32_f16 v58, v23, v11
	ds_read_b128 v[8:11], v109 offset:14080
	v_dot2c_f32_f16 v46, v20, v18
	v_dot2c_f32_f16 v52, v21, v18
	;; [unrolled: 1-line block ×4, first 2 shown]
	v_mul_lo_u32 v18, v16, s40
	v_dot2c_f32_f16 v91, v20, v17
	v_dot2c_f32_f16 v86, v21, v17
	;; [unrolled: 1-line block ×4, first 2 shown]
	v_lshl_add_u32 v17, s57, 7, v111
	v_dot2c_f32_f16 v45, v20, v19
	v_dot2c_f32_f16 v51, v21, v19
	;; [unrolled: 1-line block ×4, first 2 shown]
	v_mad_u64_u32 v[18:19], null, v17, s41, v[18:19]
	s_waitcnt lgkmcnt(2)
	v_dot2c_f32_f16 v108, v0, v12
	v_dot2c_f32_f16 v107, v0, v13
	;; [unrolled: 1-line block ×16, first 2 shown]
	s_waitcnt lgkmcnt(1)
	v_dot2c_f32_f16 v106, v0, v4
	v_dot2c_f32_f16 v105, v0, v5
	;; [unrolled: 1-line block ×16, first 2 shown]
	ds_read_b128 v[0:3], v109 offset:14336
	s_waitcnt lgkmcnt(1)
	v_dot2c_f32_f16 v92, v8, v12
	v_dot2c_f32_f16 v91, v8, v13
	;; [unrolled: 1-line block ×8, first 2 shown]
	v_lshlrev_b32_e32 v8, 1, v18
	s_lshl_b32 s18, s42, 1
	s_and_b32 s17, s13, 0xffff
	s_mov_b32 s19, 0x31014000
	s_lshl_b32 s0, s41, 6
	buffer_load_dwordx2 v[22:23], v8, s[16:19], 0 offen
	v_add_lshl_u32 v8, v18, s0, 1
	v_add_nc_u32_e32 v18, s40, v18
	v_dot2c_f32_f16 v87, v9, v12
	v_dot2c_f32_f16 v86, v9, v13
	;; [unrolled: 1-line block ×3, first 2 shown]
	buffer_load_dwordx2 v[24:25], v8, s[16:19], 0 offen
	v_lshlrev_b32_e32 v19, 1, v18
	v_dot2c_f32_f16 v51, v9, v15
	v_dot2c_f32_f16 v79, v10, v12
	;; [unrolled: 1-line block ×9, first 2 shown]
	ds_read_b128 v[12:15], v110 offset:30720
	v_dot2c_f32_f16 v85, v9, v4
	v_dot2c_f32_f16 v83, v9, v5
	;; [unrolled: 1-line block ×12, first 2 shown]
	ds_read_b128 v[4:7], v110 offset:30976
	v_add_lshl_u32 v20, v18, s0, 1
	buffer_load_dwordx2 v[26:27], v19, s[16:19], 0 offen
	v_add_nc_u32_e32 v18, s40, v18
	v_cmp_gt_i32_e32 vcc_lo, s33, v17
	s_lshl_b32 s14, s36, 1
	buffer_load_dwordx2 v[28:29], v20, s[16:19], 0 offen
	s_waitcnt lgkmcnt(1)
	v_dot2c_f32_f16 v108, v0, v12
	v_lshlrev_b32_e32 v19, 1, v18
	v_add_lshl_u32 v20, v18, s0, 1
	v_add_nc_u32_e32 v18, s40, v18
	v_dot2c_f32_f16 v107, v0, v13
	v_dot2c_f32_f16 v81, v0, v14
	s_clause 0x1
	buffer_load_dwordx2 v[30:31], v19, s[16:19], 0 offen
	buffer_load_dwordx2 v[32:33], v20, s[16:19], 0 offen
	v_dot2c_f32_f16 v80, v0, v15
	v_add_lshl_u32 v19, v18, s0, 1
	v_dot2c_f32_f16 v104, v1, v12
	v_dot2c_f32_f16 v103, v1, v13
	;; [unrolled: 1-line block ×3, first 2 shown]
	s_waitcnt lgkmcnt(0)
	v_dot2c_f32_f16 v106, v0, v4
	v_dot2c_f32_f16 v105, v0, v5
	;; [unrolled: 1-line block ×4, first 2 shown]
	v_lshlrev_b32_e32 v0, 1, v18
	buffer_load_dwordx2 v[36:37], v19, s[16:19], 0 offen
	v_mad_u64_u32 v[18:19], null, s40, 61, v[18:19]
	v_dot2c_f32_f16 v69, v1, v15
	buffer_load_dwordx2 v[34:35], v0, s[16:19], 0 offen
	ds_read_b128 v[8:11], v109 offset:14592
	v_dot2c_f32_f16 v100, v2, v12
	v_dot2c_f32_f16 v99, v2, v13
	;; [unrolled: 1-line block ×3, first 2 shown]
	v_lshlrev_b32_e32 v19, 1, v18
	v_add_lshl_u32 v20, v18, s0, 1
	v_add_nc_u32_e32 v18, s40, v18
	v_dot2c_f32_f16 v67, v2, v15
	v_dot2c_f32_f16 v96, v3, v12
	s_clause 0x1
	buffer_load_dwordx2 v[38:39], v19, s[16:19], 0 offen
	buffer_load_dwordx2 v[40:41], v20, s[16:19], 0 offen
	v_dot2c_f32_f16 v95, v3, v13
	v_dot2c_f32_f16 v62, v3, v14
	;; [unrolled: 1-line block ×15, first 2 shown]
	ds_read_b128 v[0:3], v109 offset:14848
	s_waitcnt lgkmcnt(1)
	v_dot2c_f32_f16 v92, v8, v12
	v_dot2c_f32_f16 v91, v8, v13
	;; [unrolled: 1-line block ×16, first 2 shown]
	v_lshlrev_b32_e32 v8, 1, v18
	v_add_lshl_u32 v9, v18, s0, 1
	v_dot2c_f32_f16 v79, v10, v12
	v_dot2c_f32_f16 v78, v10, v13
	;; [unrolled: 1-line block ×8, first 2 shown]
	ds_read_b128 v[12:15], v110 offset:31232
	v_dot2c_f32_f16 v77, v10, v4
	v_dot2c_f32_f16 v76, v10, v5
	;; [unrolled: 1-line block ×5, first 2 shown]
	s_clause 0x1
	buffer_load_dwordx2 v[42:43], v8, s[16:19], 0 offen
	buffer_load_dwordx2 v[111:112], v9, s[16:19], 0 offen
	v_dot2c_f32_f16 v82, v11, v5
	v_dot2c_f32_f16 v57, v11, v6
	;; [unrolled: 1-line block ×3, first 2 shown]
	ds_read_b128 v[4:7], v110 offset:31488
	ds_read_b128 v[8:11], v109 offset:15104
	v_add_nc_u32_e32 v18, s40, v18
	s_and_b32 s13, s11, 0xffff
	v_lshlrev_b32_e32 v19, 1, v18
	s_waitcnt lgkmcnt(2)
	v_dot2c_f32_f16 v108, v0, v12
	v_dot2c_f32_f16 v107, v0, v13
	buffer_load_dwordx2 v[113:114], v19, s[16:19], 0 offen
	v_add_lshl_u32 v19, v18, s0, 1
	v_add_nc_u32_e32 v18, s40, v18
	v_dot2c_f32_f16 v81, v0, v14
	v_dot2c_f32_f16 v80, v0, v15
	v_dot2c_f32_f16 v104, v1, v12
	buffer_load_dwordx2 v[115:116], v19, s[16:19], 0 offen
	v_dot2c_f32_f16 v103, v1, v13
	s_waitcnt lgkmcnt(1)
	v_dot2c_f32_f16 v106, v0, v4
	v_dot2c_f32_f16 v105, v0, v5
	;; [unrolled: 1-line block ×4, first 2 shown]
	v_add_lshl_u32 v0, v18, s0, 1
	v_dot2c_f32_f16 v70, v1, v14
	v_dot2c_f32_f16 v69, v1, v15
	;; [unrolled: 1-line block ×4, first 2 shown]
	buffer_load_dwordx2 v[119:120], v0, s[16:19], 0 offen
	v_lshlrev_b32_e32 v19, 1, v18
	v_dot2c_f32_f16 v68, v2, v14
	v_dot2c_f32_f16 v67, v2, v15
	;; [unrolled: 1-line block ×4, first 2 shown]
	buffer_load_dwordx2 v[117:118], v19, s[16:19], 0 offen
	v_dot2c_f32_f16 v62, v3, v14
	v_dot2c_f32_f16 v61, v3, v15
	v_dot2c_f32_f16 v102, v1, v4
	v_dot2c_f32_f16 v101, v1, v5
	v_dot2c_f32_f16 v71, v1, v6
	v_dot2c_f32_f16 v72, v1, v7
	v_dot2c_f32_f16 v98, v2, v4
	v_dot2c_f32_f16 v97, v2, v5
	v_dot2c_f32_f16 v65, v2, v6
	v_dot2c_f32_f16 v66, v2, v7
	v_dot2c_f32_f16 v94, v3, v4
	v_dot2c_f32_f16 v93, v3, v5
	v_dot2c_f32_f16 v63, v3, v6
	v_dot2c_f32_f16 v64, v3, v7
	ds_read_b128 v[0:3], v109 offset:15360
	s_waitcnt lgkmcnt(1)
	v_dot2c_f32_f16 v92, v8, v12
	v_dot2c_f32_f16 v91, v8, v13
	;; [unrolled: 1-line block ×15, first 2 shown]
	ds_read_b128 v[18:21], v110 offset:31744
	v_dot2c_f32_f16 v60, v11, v15
	v_dot2c_f32_f16 v90, v8, v4
	;; [unrolled: 1-line block ×15, first 2 shown]
	ds_read_b128 v[12:15], v110 offset:32000
	v_dot2c_f32_f16 v57, v11, v6
	v_dot2c_f32_f16 v58, v11, v7
	ds_read_b128 v[4:7], v109 offset:15616
	s_waitcnt lgkmcnt(2)
	v_dot2c_f32_f16 v108, v0, v18
	v_dot2c_f32_f16 v107, v0, v19
	;; [unrolled: 1-line block ×16, first 2 shown]
	s_waitcnt lgkmcnt(1)
	v_dot2c_f32_f16 v106, v0, v12
	v_dot2c_f32_f16 v105, v0, v13
	;; [unrolled: 1-line block ×16, first 2 shown]
	ds_read_b128 v[0:3], v109 offset:15872
	s_waitcnt lgkmcnt(1)
	v_dot2c_f32_f16 v92, v4, v18
	v_dot2c_f32_f16 v91, v4, v19
	;; [unrolled: 1-line block ×15, first 2 shown]
	ds_read_b128 v[8:11], v110 offset:32256
	v_dot2c_f32_f16 v60, v7, v21
	v_dot2c_f32_f16 v90, v4, v12
	;; [unrolled: 1-line block ×17, first 2 shown]
	ds_read_b128 v[4:7], v109 offset:16128
	ds_read_b128 v[18:21], v110 offset:32512
	v_cmp_gt_i32_e64 s0, s15, v16
	s_waitcnt lgkmcnt(2)
	v_dot2c_f32_f16 v81, v0, v10
	v_dot2c_f32_f16 v70, v1, v10
	;; [unrolled: 1-line block ×4, first 2 shown]
	s_and_b32 s1, s0, vcc_lo
	v_dot2c_f32_f16 v108, v0, v8
	v_dot2c_f32_f16 v107, v0, v9
	;; [unrolled: 1-line block ×6, first 2 shown]
	v_or_b32_e32 v12, 1, v16
	v_dot2c_f32_f16 v103, v1, v9
	v_dot2c_f32_f16 v69, v1, v11
	;; [unrolled: 1-line block ×5, first 2 shown]
	s_waitcnt lgkmcnt(1)
	v_dot2c_f32_f16 v46, v4, v10
	v_dot2c_f32_f16 v52, v5, v10
	v_dot2c_f32_f16 v54, v6, v10
	v_dot2c_f32_f16 v59, v7, v10
	v_add_nc_u32_e32 v10, 64, v17
	s_waitcnt lgkmcnt(0)
	v_dot2c_f32_f16 v106, v0, v18
	v_dot2c_f32_f16 v105, v0, v19
	;; [unrolled: 1-line block ×20, first 2 shown]
	s_waitcnt vmcnt(15)
	v_cndmask_b32_e64 v8, 0, v23, s1
	v_cndmask_b32_e64 v0, 0, v22, s1
	v_cmp_gt_i32_e64 s1, s33, v10
	v_dot2c_f32_f16 v95, v3, v9
	v_dot2c_f32_f16 v94, v3, v18
	;; [unrolled: 1-line block ×3, first 2 shown]
	v_cvt_f32_f16_e32 v1, v0
	s_and_b32 s0, s0, s1
	v_cvt_f32_f16_sdwa v0, v0 dst_sel:DWORD dst_unused:UNUSED_PAD src0_sel:WORD_1
	s_waitcnt vmcnt(14)
	v_cndmask_b32_e64 v2, 0, v24, s0
	v_cndmask_b32_e64 v11, 0, v25, s0
	v_cmp_gt_i32_e64 s0, s15, v12
	v_dot2c_f32_f16 v63, v3, v20
	v_dot2c_f32_f16 v64, v3, v21
	v_add_f32_e32 v1, v108, v1
	v_add_f32_e32 v0, v107, v0
	v_cvt_f32_f16_e32 v3, v2
	s_and_b32 s2, s0, vcc_lo
	v_dot2c_f32_f16 v91, v4, v9
	v_dot2c_f32_f16 v86, v5, v9
	;; [unrolled: 1-line block ×4, first 2 shown]
	v_max_f32_e32 v9, 0, v1
	v_max_f32_e32 v13, 0, v0
	v_add_f32_e32 v0, v106, v3
	v_dot2c_f32_f16 v89, v4, v19
	v_dot2c_f32_f16 v83, v5, v19
	v_dot2c_f32_f16 v76, v6, v19
	v_dot2c_f32_f16 v82, v7, v19
	s_and_b32 s0, s0, s1
	v_or_b32_e32 v19, 2, v16
	v_dot2c_f32_f16 v90, v4, v18
	s_waitcnt vmcnt(13)
	v_cndmask_b32_e64 v1, 0, v26, s2
	v_dot2c_f32_f16 v85, v5, v18
	v_dot2c_f32_f16 v77, v6, v18
	;; [unrolled: 1-line block ×3, first 2 shown]
	s_waitcnt vmcnt(12)
	v_cndmask_b32_e64 v3, 0, v28, s0
	v_cvt_f32_f16_sdwa v2, v2 dst_sel:DWORD dst_unused:UNUSED_PAD src0_sel:WORD_1
	v_max_f32_e32 v18, 0, v0
	v_cvt_f32_f16_e32 v0, v1
	v_cvt_f32_f16_sdwa v1, v1 dst_sel:DWORD dst_unused:UNUSED_PAD src0_sel:WORD_1
	v_cndmask_b32_e64 v15, 0, v29, s0
	v_cmp_gt_i32_e64 s0, s15, v19
	v_dot2c_f32_f16 v48, v4, v20
	v_dot2c_f32_f16 v47, v4, v21
	v_cvt_f32_f16_e32 v4, v3
	v_add_f32_e32 v2, v105, v2
	v_add_f32_e32 v0, v104, v0
	;; [unrolled: 1-line block ×3, first 2 shown]
	v_cndmask_b32_e64 v14, 0, v27, s2
	s_and_b32 s2, s0, vcc_lo
	s_and_b32 s0, s0, s1
	v_or_b32_e32 v26, 3, v16
	v_dot2c_f32_f16 v50, v5, v20
	v_dot2c_f32_f16 v49, v5, v21
	;; [unrolled: 1-line block ×6, first 2 shown]
	v_add_f32_e32 v4, v102, v4
	v_max_f32_e32 v20, 0, v2
	v_max_f32_e32 v21, 0, v0
	;; [unrolled: 1-line block ×3, first 2 shown]
	v_cvt_f32_f16_sdwa v0, v3 dst_sel:DWORD dst_unused:UNUSED_PAD src0_sel:WORD_1
	s_waitcnt vmcnt(11)
	v_cndmask_b32_e64 v1, 0, v30, s2
	s_waitcnt vmcnt(10)
	v_cndmask_b32_e64 v2, 0, v32, s0
	v_cndmask_b32_e64 v25, 0, v33, s0
	v_cmp_gt_i32_e64 s0, s15, v26
	v_max_f32_e32 v23, 0, v4
	v_add_f32_e32 v0, v101, v0
	v_cvt_f32_f16_e32 v3, v1
	v_cvt_f32_f16_sdwa v1, v1 dst_sel:DWORD dst_unused:UNUSED_PAD src0_sel:WORD_1
	v_cvt_f32_f16_e32 v4, v2
	v_cndmask_b32_e64 v24, 0, v31, s2
	s_and_b32 s2, s0, vcc_lo
	v_max_f32_e32 v27, 0, v0
	v_add_f32_e32 v0, v100, v3
	v_add_f32_e32 v1, v99, v1
	;; [unrolled: 1-line block ×3, first 2 shown]
	s_waitcnt vmcnt(8)
	v_cndmask_b32_e64 v4, 0, v34, s2
	s_and_b32 s0, s0, s1
	v_max_f32_e32 v29, 0, v0
	v_max_f32_e32 v30, 0, v1
	;; [unrolled: 1-line block ×3, first 2 shown]
	v_cvt_f32_f16_sdwa v1, v2 dst_sel:DWORD dst_unused:UNUSED_PAD src0_sel:WORD_1
	v_cvt_f32_f16_e32 v2, v4
	v_cvt_f32_f16_sdwa v3, v4 dst_sel:DWORD dst_unused:UNUSED_PAD src0_sel:WORD_1
	v_cndmask_b32_e64 v4, 0, v36, s0
	v_or_b32_e32 v0, 64, v16
	v_cndmask_b32_e64 v32, 0, v37, s0
	v_add_f32_e32 v1, v97, v1
	v_cndmask_b32_e64 v28, 0, v35, s2
	v_cvt_f32_f16_e32 v5, v4
	v_cvt_f32_f16_sdwa v4, v4 dst_sel:DWORD dst_unused:UNUSED_PAD src0_sel:WORD_1
	v_cmp_gt_i32_e64 s0, s15, v0
	v_add_f32_e32 v2, v96, v2
	v_add_f32_e32 v3, v95, v3
	v_max_f32_e32 v33, 0, v1
	v_add_f32_e32 v37, v93, v4
	v_add_nc_u32_e32 v4, 0x41, v16
	s_and_b32 s2, s0, vcc_lo
	s_and_b32 s0, s0, s1
	v_add_f32_e32 v1, v94, v5
	s_waitcnt vmcnt(6)
	v_cndmask_b32_e64 v5, 0, v41, s0
	v_cndmask_b32_e64 v7, 0, v40, s0
	v_cmp_gt_i32_e64 s0, s15, v4
	v_max_f32_e32 v34, 0, v2
	v_max_f32_e32 v35, 0, v3
	v_cndmask_b32_e64 v3, 0, v39, s2
	v_cndmask_b32_e64 v2, 0, v38, s2
	s_and_b32 s2, s0, vcc_lo
	s_and_b32 s0, s0, s1
	v_cvt_f32_f16_e32 v6, v7
	v_cvt_f32_f16_sdwa v7, v7 dst_sel:DWORD dst_unused:UNUSED_PAD src0_sel:WORD_1
	v_max_f32_e32 v36, 0, v1
	v_cvt_f32_f16_e32 v1, v2
	v_cvt_f32_f16_sdwa v2, v2 dst_sel:DWORD dst_unused:UNUSED_PAD src0_sel:WORD_1
	v_add_f32_e32 v6, v90, v6
	v_add_f32_e32 v7, v89, v7
	s_waitcnt vmcnt(5)
	v_cndmask_b32_e64 v39, 0, v42, s2
	v_add_nc_u32_e32 v42, 0x42, v16
	s_waitcnt vmcnt(4)
	v_cndmask_b32_e64 v41, 0, v111, s0
	v_cndmask_b32_e64 v40, 0, v112, s0
	;; [unrolled: 1-line block ×3, first 2 shown]
	v_cvt_f32_f16_e32 v43, v39
	v_cmp_gt_i32_e64 s0, s15, v42
	v_cvt_f32_f16_e32 v44, v41
	v_cvt_f32_f16_sdwa v39, v39 dst_sel:DWORD dst_unused:UNUSED_PAD src0_sel:WORD_1
	v_max_f32_e32 v89, 0, v7
	v_add_f32_e32 v7, v87, v43
	s_and_b32 s2, s0, vcc_lo
	v_add_f32_e32 v43, v85, v44
	v_cvt_f32_f16_sdwa v41, v41 dst_sel:DWORD dst_unused:UNUSED_PAD src0_sel:WORD_1
	v_add_f32_e32 v39, v86, v39
	v_max_f32_e32 v86, 0, v7
	s_waitcnt vmcnt(3)
	v_cndmask_b32_e64 v85, 0, v113, s2
	s_and_b32 s0, s0, s1
	v_add_f32_e32 v7, v83, v41
	v_add_f32_e32 v2, v91, v2
	;; [unrolled: 1-line block ×3, first 2 shown]
	v_cvt_f32_f16_e32 v41, v85
	v_cvt_f32_f16_sdwa v83, v85 dst_sel:DWORD dst_unused:UNUSED_PAD src0_sel:WORD_1
	v_add_nc_u32_e32 v85, 0x43, v16
	s_waitcnt vmcnt(2)
	v_cndmask_b32_e64 v87, 0, v116, s0
	v_cndmask_b32_e64 v90, 0, v115, s0
	v_max_f32_e32 v91, 0, v7
	v_add_f32_e32 v7, v79, v41
	v_cmp_gt_i32_e64 s0, s15, v85
	v_add_f32_e32 v41, v78, v83
	v_cvt_f32_f16_e32 v78, v90
	v_cvt_f32_f16_sdwa v79, v90 dst_sel:DWORD dst_unused:UNUSED_PAD src0_sel:WORD_1
	v_max_f32_e32 v92, 0, v7
	s_and_b32 vcc_lo, s0, vcc_lo
	v_cvt_f16_f32_e32 v9, v9
	v_add_f32_e32 v7, v77, v78
	v_add_f32_e32 v76, v76, v79
	v_cvt_f16_f32_e32 v13, v13
	v_cndmask_b32_e64 v44, 0, v114, s2
	s_waitcnt vmcnt(0)
	v_cndmask_b32_e32 v90, 0, v117, vcc_lo
	v_cndmask_b32_e32 v83, 0, v118, vcc_lo
	s_and_b32 vcc_lo, s0, s1
	v_max_f32_e32 v93, 0, v7
	v_cndmask_b32_e32 v79, 0, v119, vcc_lo
	v_cvt_f32_f16_e32 v77, v90
	v_cvt_f32_f16_sdwa v90, v90 dst_sel:DWORD dst_unused:UNUSED_PAD src0_sel:WORD_1
	v_cndmask_b32_e32 v78, 0, v120, vcc_lo
	v_cmp_gt_i32_e32 vcc_lo, s37, v17
	v_cmp_gt_i32_e64 s1, s20, v16
	v_add_f32_e32 v7, v75, v77
	v_cvt_f32_f16_e32 v75, v79
	v_add_f32_e32 v77, v88, v90
	v_cvt_f32_f16_sdwa v88, v8 dst_sel:DWORD dst_unused:UNUSED_PAD src0_sel:WORD_1
	v_cvt_f32_f16_e32 v8, v8
	v_max_f32_e32 v90, 0, v7
	v_add_f32_e32 v7, v84, v75
	v_max_f32_e32 v75, 0, v77
	v_add_f32_e32 v77, v80, v88
	v_add_f32_e32 v8, v81, v8
	s_and_b32 s0, s1, vcc_lo
	v_max_f32_e32 v80, 0, v7
	v_mul_lo_u32 v7, v16, s34
	v_cndmask_b32_e64 v16, 0x80000000, 0, s0
	v_max_f32_e32 v8, 0, v8
	v_cmp_gt_i32_e64 s0, s37, v10
	v_max_f32_e32 v77, 0, v77
	s_lshl_b32 s2, s35, 6
	v_cvt_f16_f32_e32 v10, v18
	v_cvt_f16_f32_e32 v81, v8
	v_mad_u64_u32 v[7:8], null, v17, s35, v[7:8]
	v_pack_b32_f16 v8, v9, v13
	v_cvt_f32_f16_sdwa v13, v11 dst_sel:DWORD dst_unused:UNUSED_PAD src0_sel:WORD_1
	v_cvt_f32_f16_e32 v11, v11
	s_and_b32 s1, s1, s0
	v_cvt_f16_f32_e32 v77, v77
	v_cvt_f16_f32_e32 v18, v20
	v_add_f32_e32 v13, v73, v13
	v_add_f32_e32 v11, v74, v11
	v_add_nc_u32_e32 v17, s2, v7
	v_cndmask_b32_e64 v20, 0x80000000, 0, s1
	v_pack_b32_f16 v9, v81, v77
	v_max_f32_e32 v13, 0, v13
	v_max_f32_e32 v11, 0, v11
	v_lshl_add_u32 v16, v7, 1, v16
	v_pack_b32_f16 v10, v10, v18
	v_cvt_f32_f16_sdwa v18, v15 dst_sel:DWORD dst_unused:UNUSED_PAD src0_sel:WORD_1
	v_cvt_f16_f32_e32 v13, v13
	v_cvt_f16_f32_e32 v11, v11
	v_cvt_f32_f16_e32 v15, v15
	s_mov_b32 s15, s19
	v_add_f32_e32 v18, v72, v18
	v_cmp_gt_i32_e64 s1, s20, v12
	v_pack_b32_f16 v11, v11, v13
	v_lshl_add_u32 v13, v17, 1, v20
	buffer_store_dwordx2 v[8:9], v16, s[12:15], 0 offen
	buffer_store_dwordx2 v[10:11], v13, s[12:15], 0 offen
	v_add_f32_e32 v8, v71, v15
	v_cvt_f32_f16_sdwa v12, v14 dst_sel:DWORD dst_unused:UNUSED_PAD src0_sel:WORD_1
	v_cvt_f32_f16_e32 v13, v14
	v_max_f32_e32 v9, 0, v18
	v_cvt_f16_f32_e32 v10, v23
	v_cvt_f16_f32_e32 v11, v27
	v_max_f32_e32 v8, 0, v8
	v_add_f32_e32 v12, v69, v12
	v_add_f32_e32 v13, v70, v13
	s_and_b32 s3, s1, s0
	v_add_nc_u32_e32 v15, s34, v17
	v_cvt_f16_f32_e32 v9, v9
	v_cvt_f16_f32_e32 v14, v8
	v_cndmask_b32_e64 v16, 0x80000000, 0, s3
	v_pack_b32_f16 v8, v10, v11
	v_max_f32_e32 v10, 0, v12
	v_max_f32_e32 v11, 0, v13
	v_cvt_f16_f32_e32 v12, v21
	v_cvt_f16_f32_e32 v13, v22
	v_cvt_f32_f16_sdwa v17, v24 dst_sel:DWORD dst_unused:UNUSED_PAD src0_sel:WORD_1
	v_cvt_f32_f16_e32 v18, v24
	v_pack_b32_f16 v9, v14, v9
	v_lshl_add_u32 v14, v15, 1, v16
	v_cvt_f16_f32_e32 v16, v10
	v_pack_b32_f16 v10, v12, v13
	v_add_f32_e32 v12, v67, v17
	v_add_f32_e32 v13, v68, v18
	s_and_b32 s1, s1, vcc_lo
	v_add_nc_u32_e32 v7, s34, v7
	v_cndmask_b32_e64 v20, 0x80000000, 0, s1
	v_cmp_gt_i32_e64 s1, s20, v19
	v_cvt_f16_f32_e32 v11, v11
	v_max_f32_e32 v12, 0, v12
	v_max_f32_e32 v13, 0, v13
	v_cvt_f16_f32_e32 v17, v29
	s_and_b32 s3, s1, vcc_lo
	v_cvt_f16_f32_e32 v18, v30
	v_cvt_f32_f16_sdwa v21, v25 dst_sel:DWORD dst_unused:UNUSED_PAD src0_sel:WORD_1
	v_pack_b32_f16 v11, v11, v16
	v_lshl_add_u32 v16, v7, 1, v20
	v_add_nc_u32_e32 v7, s34, v7
	v_cvt_f16_f32_e32 v19, v12
	v_cvt_f16_f32_e32 v13, v13
	v_cndmask_b32_e64 v20, 0x80000000, 0, s3
	v_pack_b32_f16 v12, v17, v18
	v_cvt_f32_f16_e32 v17, v25
	v_add_f32_e32 v18, v66, v21
	v_pack_b32_f16 v13, v13, v19
	v_lshl_add_u32 v7, v7, 1, v20
	buffer_store_dwordx2 v[8:9], v14, s[12:15], 0 offen
	v_add_f32_e32 v8, v65, v17
	buffer_store_dwordx2 v[10:11], v16, s[12:15], 0 offen
	buffer_store_dwordx2 v[12:13], v7, s[12:15], 0 offen
	v_max_f32_e32 v7, 0, v18
	v_cvt_f16_f32_e32 v9, v31
	v_max_f32_e32 v8, 0, v8
	v_cvt_f16_f32_e32 v10, v33
	v_cvt_f32_f16_e32 v12, v32
	v_cvt_f16_f32_e32 v11, v7
	v_cvt_f32_f16_sdwa v7, v32 dst_sel:DWORD dst_unused:UNUSED_PAD src0_sel:WORD_1
	v_max_f32_e32 v37, 0, v37
	v_add_nc_u32_e32 v13, s34, v15
	v_cvt_f16_f32_e32 v8, v8
	v_cvt_f32_f16_sdwa v16, v28 dst_sel:DWORD dst_unused:UNUSED_PAD src0_sel:WORD_1
	v_add_f32_e32 v15, v64, v7
	v_pack_b32_f16 v7, v9, v10
	v_add_f32_e32 v9, v63, v12
	v_pack_b32_f16 v8, v8, v11
	v_cvt_f16_f32_e32 v11, v36
	v_max_f32_e32 v10, 0, v15
	v_cvt_f16_f32_e32 v12, v37
	v_max_f32_e32 v9, 0, v9
	v_cvt_f32_f16_e32 v17, v28
	s_and_b32 s1, s1, s0
	v_cvt_f16_f32_e32 v10, v10
	v_cndmask_b32_e64 v14, 0x80000000, 0, s1
	v_cvt_f16_f32_e32 v18, v9
	v_pack_b32_f16 v9, v11, v12
	v_add_f32_e32 v11, v61, v16
	v_add_f32_e32 v12, v62, v17
	v_cmp_gt_i32_e64 s1, s20, v26
	v_lshl_add_u32 v14, v13, 1, v14
	v_add_nc_u32_e32 v15, s34, v13
	v_pack_b32_f16 v10, v18, v10
	v_max_f32_e32 v11, 0, v11
	v_max_f32_e32 v12, 0, v12
	v_cvt_f16_f32_e32 v18, v34
	v_cvt_f16_f32_e32 v19, v35
	s_and_b32 s3, s1, s0
	s_and_b32 s1, s1, vcc_lo
	v_cndmask_b32_e64 v16, 0x80000000, 0, s3
	v_subrev_nc_u32_e32 v17, s2, v15
	v_cvt_f16_f32_e32 v20, v11
	v_cvt_f16_f32_e32 v12, v12
	v_cndmask_b32_e64 v21, 0x80000000, 0, s1
	v_pack_b32_f16 v11, v18, v19
	v_cvt_f32_f16_sdwa v18, v83 dst_sel:DWORD dst_unused:UNUSED_PAD src0_sel:WORD_1
	buffer_store_dwordx2 v[7:8], v14, s[12:15], 0 offen
	v_cvt_f32_f16_e32 v7, v83
	v_cvt_f32_f16_sdwa v79, v79 dst_sel:DWORD dst_unused:UNUSED_PAD src0_sel:WORD_1
	v_lshl_add_u32 v16, v15, 1, v16
	v_pack_b32_f16 v12, v12, v20
	v_lshl_add_u32 v19, v17, 1, v21
	v_add_f32_e32 v8, v60, v18
	v_add_f32_e32 v7, v59, v7
	v_cmp_gt_i32_e64 s1, s20, v85
	v_add_f32_e32 v79, v82, v79
	buffer_store_dwordx2 v[9:10], v16, s[12:15], 0 offen
	buffer_store_dwordx2 v[11:12], v19, s[12:15], 0 offen
	v_max_f32_e32 v8, 0, v8
	v_max_f32_e32 v7, 0, v7
	v_cvt_f32_f16_sdwa v12, v78 dst_sel:DWORD dst_unused:UNUSED_PAD src0_sel:WORD_1
	v_cvt_f32_f16_e32 v14, v78
	s_lshl_b32 s3, s34, 6
	s_and_b32 s4, s1, vcc_lo
	v_max_f32_e32 v79, 0, v79
	v_add_nc_u32_e32 v9, s3, v17
	v_cvt_f16_f32_e32 v10, v90
	v_cvt_f16_f32_e32 v11, v75
	;; [unrolled: 1-line block ×4, first 2 shown]
	v_cndmask_b32_e64 v17, 0x80000000, 0, s4
	v_add_f32_e32 v12, v58, v12
	v_add_f32_e32 v14, v57, v14
	v_pack_b32_f16 v7, v10, v11
	v_pack_b32_f16 v8, v16, v8
	v_lshl_add_u32 v16, v9, 1, v17
	v_max_f32_e32 v9, 0, v12
	v_max_f32_e32 v10, 0, v14
	v_cvt_f16_f32_e32 v12, v80
	v_cvt_f16_f32_e32 v14, v79
	v_cvt_f32_f16_sdwa v17, v87 dst_sel:DWORD dst_unused:UNUSED_PAD src0_sel:WORD_1
	v_cvt_f32_f16_e32 v18, v87
	s_and_b32 s1, s1, s0
	v_max_f32_e32 v76, 0, v76
	v_add_nc_u32_e32 v11, s3, v15
	v_cvt_f16_f32_e32 v15, v9
	v_cvt_f16_f32_e32 v10, v10
	v_cndmask_b32_e64 v19, 0x80000000, 0, s1
	v_pack_b32_f16 v9, v12, v14
	v_add_f32_e32 v12, v55, v17
	v_add_f32_e32 v14, v56, v18
	v_cmp_ge_i32_e64 s1, s20, v85
	v_pack_b32_f16 v10, v10, v15
	v_lshl_add_u32 v15, v11, 1, v19
	v_max_f32_e32 v11, 0, v12
	v_max_f32_e32 v12, 0, v14
	v_cvt_f16_f32_e32 v14, v93
	v_cvt_f16_f32_e32 v17, v76
	s_and_b32 s1, s1, s0
	v_cvt_f16_f32_e32 v18, v11
	v_add_nc_u32_e32 v13, s3, v13
	v_cvt_f16_f32_e32 v12, v12
	v_pack_b32_f16 v11, v14, v17
	v_cvt_f32_f16_sdwa v14, v44 dst_sel:DWORD dst_unused:UNUSED_PAD src0_sel:WORD_1
	v_cndmask_b32_e64 v19, 0x80000000, 0, s1
	v_max_f32_e32 v41, 0, v41
	buffer_store_dwordx2 v[7:8], v16, s[12:15], 0 offen
	v_pack_b32_f16 v12, v12, v18
	v_add_f32_e32 v7, v53, v14
	v_lshl_add_u32 v18, v13, 1, v19
	v_cmp_gt_i32_e64 s1, s20, v42
	buffer_store_dwordx2 v[9:10], v15, s[12:15], 0 offen
	buffer_store_dwordx2 v[11:12], v18, s[12:15], 0 offen
	v_subrev_nc_u32_e32 v9, s2, v13
	v_max_f32_e32 v7, 0, v7
	v_cvt_f16_f32_e32 v10, v92
	v_cvt_f16_f32_e32 v11, v41
	v_cvt_f32_f16_e32 v13, v38
	v_cvt_f32_f16_sdwa v14, v38 dst_sel:DWORD dst_unused:UNUSED_PAD src0_sel:WORD_1
	s_and_b32 s1, s1, vcc_lo
	v_cvt_f32_f16_e32 v17, v44
	v_cvt_f16_f32_e32 v12, v7
	v_cndmask_b32_e64 v15, 0x80000000, 0, s1
	v_pack_b32_f16 v7, v10, v11
	v_add_f32_e32 v10, v51, v14
	v_add_f32_e32 v11, v52, v13
	;; [unrolled: 1-line block ×3, first 2 shown]
	v_lshl_add_u32 v13, v9, 1, v15
	v_cvt_f32_f16_e32 v14, v40
	v_max_f32_e32 v10, 0, v10
	v_max_f32_e32 v11, 0, v11
	v_cvt_f32_f16_sdwa v15, v40 dst_sel:DWORD dst_unused:UNUSED_PAD src0_sel:WORD_1
	v_max_f32_e32 v8, 0, v8
	v_add_f32_e32 v14, v50, v14
	v_cvt_f16_f32_e32 v10, v10
	v_cvt_f16_f32_e32 v11, v11
	v_add_f32_e32 v15, v49, v15
	v_cmp_ge_i32_e64 s1, s20, v42
	v_max_f32_e32 v39, 0, v39
	v_cvt_f16_f32_e32 v8, v8
	v_pack_b32_f16 v10, v11, v10
	v_max_f32_e32 v11, 0, v14
	v_max_f32_e32 v14, 0, v15
	s_and_b32 s1, s1, vcc_lo
	v_max_f32_e32 v43, 0, v43
	v_pack_b32_f16 v8, v8, v12
	v_subrev_nc_u32_e32 v12, s34, v9
	v_cvt_f16_f32_e32 v9, v86
	v_cvt_f16_f32_e32 v16, v39
	v_cndmask_b32_e64 v15, 0x80000000, 0, s1
	v_cvt_f16_f32_e32 v14, v14
	v_cvt_f16_f32_e32 v18, v11
	v_max_f32_e32 v6, 0, v6
	v_pack_b32_f16 v9, v9, v16
	v_cvt_f16_f32_e32 v16, v43
	v_cvt_f16_f32_e32 v17, v91
	v_lshl_add_u32 v15, v12, 1, v15
	v_add_nc_u32_e32 v19, s2, v12
	v_pack_b32_f16 v12, v18, v14
	v_cvt_f32_f16_e32 v14, v5
	v_cvt_f32_f16_sdwa v5, v5 dst_sel:DWORD dst_unused:UNUSED_PAD src0_sel:WORD_1
	v_cmp_gt_i32_e64 s1, s20, v4
	v_pack_b32_f16 v11, v16, v17
	v_cvt_f16_f32_e32 v6, v6
	v_cvt_f16_f32_e32 v17, v89
	v_add_f32_e32 v18, v47, v5
	v_add_f32_e32 v14, v48, v14
	s_and_b32 s1, s1, s0
	v_max_f32_e32 v1, 0, v1
	v_pack_b32_f16 v5, v6, v17
	v_max_f32_e32 v6, 0, v18
	v_max_f32_e32 v14, 0, v14
	v_cvt_f32_f16_sdwa v17, v3 dst_sel:DWORD dst_unused:UNUSED_PAD src0_sel:WORD_1
	v_cvt_f32_f16_e32 v3, v3
	v_cndmask_b32_e64 v16, 0x80000000, 0, s1
	v_cmp_ge_i32_e64 s1, s20, v4
	v_cvt_f16_f32_e32 v4, v6
	v_cvt_f16_f32_e32 v6, v14
	v_add_f32_e32 v14, v45, v17
	v_add_f32_e32 v3, v46, v3
	s_and_b32 s0, s1, s0
	v_max_f32_e32 v2, 0, v2
	v_cndmask_b32_e64 v17, 0x80000000, 0, s0
	v_cmp_gt_i32_e64 s0, s20, v0
	v_lshl_add_u32 v16, v19, 1, v16
	v_subrev_nc_u32_e32 v19, s34, v19
	v_max_f32_e32 v14, 0, v14
	v_max_f32_e32 v3, 0, v3
	s_and_b32 s0, s0, vcc_lo
	v_cvt_f16_f32_e32 v0, v1
	v_subrev_nc_u32_e32 v18, s2, v19
	v_cvt_f16_f32_e32 v1, v2
	v_cvt_f16_f32_e32 v2, v14
	;; [unrolled: 1-line block ×3, first 2 shown]
	v_cndmask_b32_e64 v14, 0x80000000, 0, s0
	v_pack_b32_f16 v6, v6, v4
	v_lshl_add_u32 v4, v19, 1, v17
	v_pack_b32_f16 v0, v0, v1
	v_pack_b32_f16 v1, v3, v2
	v_lshl_add_u32 v2, v18, 1, v14
	buffer_store_dwordx2 v[7:8], v13, s[12:15], 0 offen
	buffer_store_dwordx2 v[9:10], v15, s[12:15], 0 offen
	;; [unrolled: 1-line block ×5, first 2 shown]
	s_endpgm
	.section	.rodata,"a",@progbits
	.p2align	6, 0x0
	.amdhsa_kernel _ZN2ck16tensor_operation6device12_GLOBAL__N_137kernel_grouped_conv_fwd_dl_multiple_dINS_32GridwiseGemmDlMultipleD_km_kn_mnILi256EDF16_fNS_5TupleIJDF16_EEEDF16_NS0_12element_wise11PassThroughES8_NS7_7AddReluELNS_25InMemoryDataOperationEnumE0ENS_16TensorDescriptorINS5_IJNS_5EmbedINS5_IJiiiiEEESD_Lb0EEENS_11PassThroughIiEENS_3PadIiiiLb0EEESI_SG_SG_NSC_INS5_IJiiEEESJ_Lb0EEESK_SG_NS_23Merge_v2_magic_divisionINS5_IJiiiEEEEESN_NS_8RightPadIiiLb0EEESP_NS_7UnMergeISJ_Lb0EEESG_EEENS5_IJNS_8SequenceIJLi0EEEENST_IJLi1EEEENST_IJLi2EEEENST_IJLi3EEEENST_IJLi4EEEENST_IJLi5EEEENST_IJLi6EEEENST_IJLi7EEEENST_IJLi8EEEENST_IJLi9ELi11ELi13EEEENST_IJLi10ELi12ELi14EEEENST_IJLi15EEEENST_IJLi16EEEENST_IJLi18EEEENST_IJLi17EEEEEEENS5_IJNST_IJLi1ELi2ELi3ELi4EEEESZ_S10_S11_S12_NST_IJLi9EEEENST_IJLi10ELi11EEEENST_IJLi12ELi13EEEENST_IJLi14EEEES15_S16_S18_S17_NST_IJLi19ELi20EEEENST_IJLi21EEEEEEENST_IJLi19ELi21ELi20EEEElEENSB_INS5_IJSR_SP_SP_SR_SG_EEENS5_IJSU_SV_SW_SY_SX_EEENS5_IJNST_IJLi1ELi2EEEESX_SY_NST_IJLi5ELi6EEEES11_EEENST_IJLi5ELi7ELi6EEEElEENSB_INS5_IJSK_SP_SP_EEENS5_IJSU_SV_SW_EEENS5_IJS1M_SX_SY_EEENST_IJLi3ELi4EEEElEELi128ELi128ELi16ELi2ELi4ELi4ELi1ENST_IJLi8ELi2EEEES1W_NST_IJLi8ELi1ELi1ELi2EEEENST_IJLi2ELi1ELi128ELi1EEEENST_IJLi1ELi2ELi0ELi3EEEES1Z_NST_IJLi4ELi1ELi1ELi2EEEES1Z_NST_IJLi1ELi1ELi1ELi2EEEES1X_S1Y_S1Z_S1Z_S20_S1Z_S21_NST_IJLi0ELi1ELi2ELi3ELi4ELi5EEEELi5ELi4EEEDF16_NS5_IJPKDF16_EEEDF16_S8_S8_S9_NSB_INS5_IJSE_SG_SI_SI_SG_SG_SK_SK_SG_SN_SN_SP_SP_SR_SG_SG_NSQ_INS5_IJiNS_17integral_constantIiLi128EEEEEELb0EEENSF_INS27_IiLi2EEEEEEEENS5_IJSU_SV_SW_SX_SY_SZ_S10_S11_S12_S13_S14_S15_S16_S17_S18_NST_IJLi19EEEES1G_NST_IJLi20EEEEEEENS5_IJS1A_SZ_S10_S11_S12_S1B_S1C_S1D_S1E_S15_S16_S18_S17_S1F_S1G_NST_IJLi22EEEENST_IJLi23ELi24EEEENST_IJLi25EEEEEEENST_IJLi22ELi23ELi24ELi25EEEElEENSB_INS5_IJSR_SP_SP_SR_SG_SG_S2A_S2C_EEENS5_IJSU_SV_SW_SY_SX_SZ_S11_S10_EEENS5_IJS1M_SX_SY_S1N_S11_S12_NST_IJLi9ELi10EEEENST_IJLi11EEEEEEENST_IJLi8ELi9ELi10ELi11EEEElEENS5_IJNSB_INS5_IJSK_SP_SP_NSQ_INS5_IJiS2B_NS27_IiLi64EEEEEELb0EEES2W_EEENS5_IJSU_SV_SW_SX_SY_EEENS5_IJS1M_SX_SY_NST_IJLi5ELi6ELi7EEEENST_IJLi8ELi9ELi10EEEEEEENST_IJLi5ELi6ELi7ELi8ELi9ELi10EEEElEEEEES33_NS_31BlockToCTileMap_M00_N00_M01_N01ILi128ELi128ES1V_Lb0EEENS1_30ComputePtrOffsetOfStridedBatchILi1ELi1ELi1EvEELb1ELb1EEEvPKT0_S3B_T1_PT2_T3_T4_T5_iT6_T7_T8_T9_T10_T11_
		.amdhsa_group_segment_fixed_size 32768
		.amdhsa_private_segment_fixed_size 0
		.amdhsa_kernarg_size 968
		.amdhsa_user_sgpr_count 6
		.amdhsa_user_sgpr_private_segment_buffer 1
		.amdhsa_user_sgpr_dispatch_ptr 0
		.amdhsa_user_sgpr_queue_ptr 0
		.amdhsa_user_sgpr_kernarg_segment_ptr 1
		.amdhsa_user_sgpr_dispatch_id 0
		.amdhsa_user_sgpr_flat_scratch_init 0
		.amdhsa_user_sgpr_private_segment_size 0
		.amdhsa_wavefront_size32 1
		.amdhsa_uses_dynamic_stack 0
		.amdhsa_system_sgpr_private_segment_wavefront_offset 0
		.amdhsa_system_sgpr_workgroup_id_x 1
		.amdhsa_system_sgpr_workgroup_id_y 0
		.amdhsa_system_sgpr_workgroup_id_z 0
		.amdhsa_system_sgpr_workgroup_info 0
		.amdhsa_system_vgpr_workitem_id 0
		.amdhsa_next_free_vgpr 149
		.amdhsa_next_free_sgpr 77
		.amdhsa_reserve_vcc 1
		.amdhsa_reserve_flat_scratch 0
		.amdhsa_float_round_mode_32 0
		.amdhsa_float_round_mode_16_64 0
		.amdhsa_float_denorm_mode_32 3
		.amdhsa_float_denorm_mode_16_64 3
		.amdhsa_dx10_clamp 1
		.amdhsa_ieee_mode 1
		.amdhsa_fp16_overflow 0
		.amdhsa_workgroup_processor_mode 1
		.amdhsa_memory_ordered 1
		.amdhsa_forward_progress 1
		.amdhsa_shared_vgpr_count 0
		.amdhsa_exception_fp_ieee_invalid_op 0
		.amdhsa_exception_fp_denorm_src 0
		.amdhsa_exception_fp_ieee_div_zero 0
		.amdhsa_exception_fp_ieee_overflow 0
		.amdhsa_exception_fp_ieee_underflow 0
		.amdhsa_exception_fp_ieee_inexact 0
		.amdhsa_exception_int_div_zero 0
	.end_amdhsa_kernel
	.section	.text._ZN2ck16tensor_operation6device12_GLOBAL__N_137kernel_grouped_conv_fwd_dl_multiple_dINS_32GridwiseGemmDlMultipleD_km_kn_mnILi256EDF16_fNS_5TupleIJDF16_EEEDF16_NS0_12element_wise11PassThroughES8_NS7_7AddReluELNS_25InMemoryDataOperationEnumE0ENS_16TensorDescriptorINS5_IJNS_5EmbedINS5_IJiiiiEEESD_Lb0EEENS_11PassThroughIiEENS_3PadIiiiLb0EEESI_SG_SG_NSC_INS5_IJiiEEESJ_Lb0EEESK_SG_NS_23Merge_v2_magic_divisionINS5_IJiiiEEEEESN_NS_8RightPadIiiLb0EEESP_NS_7UnMergeISJ_Lb0EEESG_EEENS5_IJNS_8SequenceIJLi0EEEENST_IJLi1EEEENST_IJLi2EEEENST_IJLi3EEEENST_IJLi4EEEENST_IJLi5EEEENST_IJLi6EEEENST_IJLi7EEEENST_IJLi8EEEENST_IJLi9ELi11ELi13EEEENST_IJLi10ELi12ELi14EEEENST_IJLi15EEEENST_IJLi16EEEENST_IJLi18EEEENST_IJLi17EEEEEEENS5_IJNST_IJLi1ELi2ELi3ELi4EEEESZ_S10_S11_S12_NST_IJLi9EEEENST_IJLi10ELi11EEEENST_IJLi12ELi13EEEENST_IJLi14EEEES15_S16_S18_S17_NST_IJLi19ELi20EEEENST_IJLi21EEEEEEENST_IJLi19ELi21ELi20EEEElEENSB_INS5_IJSR_SP_SP_SR_SG_EEENS5_IJSU_SV_SW_SY_SX_EEENS5_IJNST_IJLi1ELi2EEEESX_SY_NST_IJLi5ELi6EEEES11_EEENST_IJLi5ELi7ELi6EEEElEENSB_INS5_IJSK_SP_SP_EEENS5_IJSU_SV_SW_EEENS5_IJS1M_SX_SY_EEENST_IJLi3ELi4EEEElEELi128ELi128ELi16ELi2ELi4ELi4ELi1ENST_IJLi8ELi2EEEES1W_NST_IJLi8ELi1ELi1ELi2EEEENST_IJLi2ELi1ELi128ELi1EEEENST_IJLi1ELi2ELi0ELi3EEEES1Z_NST_IJLi4ELi1ELi1ELi2EEEES1Z_NST_IJLi1ELi1ELi1ELi2EEEES1X_S1Y_S1Z_S1Z_S20_S1Z_S21_NST_IJLi0ELi1ELi2ELi3ELi4ELi5EEEELi5ELi4EEEDF16_NS5_IJPKDF16_EEEDF16_S8_S8_S9_NSB_INS5_IJSE_SG_SI_SI_SG_SG_SK_SK_SG_SN_SN_SP_SP_SR_SG_SG_NSQ_INS5_IJiNS_17integral_constantIiLi128EEEEEELb0EEENSF_INS27_IiLi2EEEEEEEENS5_IJSU_SV_SW_SX_SY_SZ_S10_S11_S12_S13_S14_S15_S16_S17_S18_NST_IJLi19EEEES1G_NST_IJLi20EEEEEEENS5_IJS1A_SZ_S10_S11_S12_S1B_S1C_S1D_S1E_S15_S16_S18_S17_S1F_S1G_NST_IJLi22EEEENST_IJLi23ELi24EEEENST_IJLi25EEEEEEENST_IJLi22ELi23ELi24ELi25EEEElEENSB_INS5_IJSR_SP_SP_SR_SG_SG_S2A_S2C_EEENS5_IJSU_SV_SW_SY_SX_SZ_S11_S10_EEENS5_IJS1M_SX_SY_S1N_S11_S12_NST_IJLi9ELi10EEEENST_IJLi11EEEEEEENST_IJLi8ELi9ELi10ELi11EEEElEENS5_IJNSB_INS5_IJSK_SP_SP_NSQ_INS5_IJiS2B_NS27_IiLi64EEEEEELb0EEES2W_EEENS5_IJSU_SV_SW_SX_SY_EEENS5_IJS1M_SX_SY_NST_IJLi5ELi6ELi7EEEENST_IJLi8ELi9ELi10EEEEEEENST_IJLi5ELi6ELi7ELi8ELi9ELi10EEEElEEEEES33_NS_31BlockToCTileMap_M00_N00_M01_N01ILi128ELi128ES1V_Lb0EEENS1_30ComputePtrOffsetOfStridedBatchILi1ELi1ELi1EvEELb1ELb1EEEvPKT0_S3B_T1_PT2_T3_T4_T5_iT6_T7_T8_T9_T10_T11_,"axG",@progbits,_ZN2ck16tensor_operation6device12_GLOBAL__N_137kernel_grouped_conv_fwd_dl_multiple_dINS_32GridwiseGemmDlMultipleD_km_kn_mnILi256EDF16_fNS_5TupleIJDF16_EEEDF16_NS0_12element_wise11PassThroughES8_NS7_7AddReluELNS_25InMemoryDataOperationEnumE0ENS_16TensorDescriptorINS5_IJNS_5EmbedINS5_IJiiiiEEESD_Lb0EEENS_11PassThroughIiEENS_3PadIiiiLb0EEESI_SG_SG_NSC_INS5_IJiiEEESJ_Lb0EEESK_SG_NS_23Merge_v2_magic_divisionINS5_IJiiiEEEEESN_NS_8RightPadIiiLb0EEESP_NS_7UnMergeISJ_Lb0EEESG_EEENS5_IJNS_8SequenceIJLi0EEEENST_IJLi1EEEENST_IJLi2EEEENST_IJLi3EEEENST_IJLi4EEEENST_IJLi5EEEENST_IJLi6EEEENST_IJLi7EEEENST_IJLi8EEEENST_IJLi9ELi11ELi13EEEENST_IJLi10ELi12ELi14EEEENST_IJLi15EEEENST_IJLi16EEEENST_IJLi18EEEENST_IJLi17EEEEEEENS5_IJNST_IJLi1ELi2ELi3ELi4EEEESZ_S10_S11_S12_NST_IJLi9EEEENST_IJLi10ELi11EEEENST_IJLi12ELi13EEEENST_IJLi14EEEES15_S16_S18_S17_NST_IJLi19ELi20EEEENST_IJLi21EEEEEEENST_IJLi19ELi21ELi20EEEElEENSB_INS5_IJSR_SP_SP_SR_SG_EEENS5_IJSU_SV_SW_SY_SX_EEENS5_IJNST_IJLi1ELi2EEEESX_SY_NST_IJLi5ELi6EEEES11_EEENST_IJLi5ELi7ELi6EEEElEENSB_INS5_IJSK_SP_SP_EEENS5_IJSU_SV_SW_EEENS5_IJS1M_SX_SY_EEENST_IJLi3ELi4EEEElEELi128ELi128ELi16ELi2ELi4ELi4ELi1ENST_IJLi8ELi2EEEES1W_NST_IJLi8ELi1ELi1ELi2EEEENST_IJLi2ELi1ELi128ELi1EEEENST_IJLi1ELi2ELi0ELi3EEEES1Z_NST_IJLi4ELi1ELi1ELi2EEEES1Z_NST_IJLi1ELi1ELi1ELi2EEEES1X_S1Y_S1Z_S1Z_S20_S1Z_S21_NST_IJLi0ELi1ELi2ELi3ELi4ELi5EEEELi5ELi4EEEDF16_NS5_IJPKDF16_EEEDF16_S8_S8_S9_NSB_INS5_IJSE_SG_SI_SI_SG_SG_SK_SK_SG_SN_SN_SP_SP_SR_SG_SG_NSQ_INS5_IJiNS_17integral_constantIiLi128EEEEEELb0EEENSF_INS27_IiLi2EEEEEEEENS5_IJSU_SV_SW_SX_SY_SZ_S10_S11_S12_S13_S14_S15_S16_S17_S18_NST_IJLi19EEEES1G_NST_IJLi20EEEEEEENS5_IJS1A_SZ_S10_S11_S12_S1B_S1C_S1D_S1E_S15_S16_S18_S17_S1F_S1G_NST_IJLi22EEEENST_IJLi23ELi24EEEENST_IJLi25EEEEEEENST_IJLi22ELi23ELi24ELi25EEEElEENSB_INS5_IJSR_SP_SP_SR_SG_SG_S2A_S2C_EEENS5_IJSU_SV_SW_SY_SX_SZ_S11_S10_EEENS5_IJS1M_SX_SY_S1N_S11_S12_NST_IJLi9ELi10EEEENST_IJLi11EEEEEEENST_IJLi8ELi9ELi10ELi11EEEElEENS5_IJNSB_INS5_IJSK_SP_SP_NSQ_INS5_IJiS2B_NS27_IiLi64EEEEEELb0EEES2W_EEENS5_IJSU_SV_SW_SX_SY_EEENS5_IJS1M_SX_SY_NST_IJLi5ELi6ELi7EEEENST_IJLi8ELi9ELi10EEEEEEENST_IJLi5ELi6ELi7ELi8ELi9ELi10EEEElEEEEES33_NS_31BlockToCTileMap_M00_N00_M01_N01ILi128ELi128ES1V_Lb0EEENS1_30ComputePtrOffsetOfStridedBatchILi1ELi1ELi1EvEELb1ELb1EEEvPKT0_S3B_T1_PT2_T3_T4_T5_iT6_T7_T8_T9_T10_T11_,comdat
.Lfunc_end5:
	.size	_ZN2ck16tensor_operation6device12_GLOBAL__N_137kernel_grouped_conv_fwd_dl_multiple_dINS_32GridwiseGemmDlMultipleD_km_kn_mnILi256EDF16_fNS_5TupleIJDF16_EEEDF16_NS0_12element_wise11PassThroughES8_NS7_7AddReluELNS_25InMemoryDataOperationEnumE0ENS_16TensorDescriptorINS5_IJNS_5EmbedINS5_IJiiiiEEESD_Lb0EEENS_11PassThroughIiEENS_3PadIiiiLb0EEESI_SG_SG_NSC_INS5_IJiiEEESJ_Lb0EEESK_SG_NS_23Merge_v2_magic_divisionINS5_IJiiiEEEEESN_NS_8RightPadIiiLb0EEESP_NS_7UnMergeISJ_Lb0EEESG_EEENS5_IJNS_8SequenceIJLi0EEEENST_IJLi1EEEENST_IJLi2EEEENST_IJLi3EEEENST_IJLi4EEEENST_IJLi5EEEENST_IJLi6EEEENST_IJLi7EEEENST_IJLi8EEEENST_IJLi9ELi11ELi13EEEENST_IJLi10ELi12ELi14EEEENST_IJLi15EEEENST_IJLi16EEEENST_IJLi18EEEENST_IJLi17EEEEEEENS5_IJNST_IJLi1ELi2ELi3ELi4EEEESZ_S10_S11_S12_NST_IJLi9EEEENST_IJLi10ELi11EEEENST_IJLi12ELi13EEEENST_IJLi14EEEES15_S16_S18_S17_NST_IJLi19ELi20EEEENST_IJLi21EEEEEEENST_IJLi19ELi21ELi20EEEElEENSB_INS5_IJSR_SP_SP_SR_SG_EEENS5_IJSU_SV_SW_SY_SX_EEENS5_IJNST_IJLi1ELi2EEEESX_SY_NST_IJLi5ELi6EEEES11_EEENST_IJLi5ELi7ELi6EEEElEENSB_INS5_IJSK_SP_SP_EEENS5_IJSU_SV_SW_EEENS5_IJS1M_SX_SY_EEENST_IJLi3ELi4EEEElEELi128ELi128ELi16ELi2ELi4ELi4ELi1ENST_IJLi8ELi2EEEES1W_NST_IJLi8ELi1ELi1ELi2EEEENST_IJLi2ELi1ELi128ELi1EEEENST_IJLi1ELi2ELi0ELi3EEEES1Z_NST_IJLi4ELi1ELi1ELi2EEEES1Z_NST_IJLi1ELi1ELi1ELi2EEEES1X_S1Y_S1Z_S1Z_S20_S1Z_S21_NST_IJLi0ELi1ELi2ELi3ELi4ELi5EEEELi5ELi4EEEDF16_NS5_IJPKDF16_EEEDF16_S8_S8_S9_NSB_INS5_IJSE_SG_SI_SI_SG_SG_SK_SK_SG_SN_SN_SP_SP_SR_SG_SG_NSQ_INS5_IJiNS_17integral_constantIiLi128EEEEEELb0EEENSF_INS27_IiLi2EEEEEEEENS5_IJSU_SV_SW_SX_SY_SZ_S10_S11_S12_S13_S14_S15_S16_S17_S18_NST_IJLi19EEEES1G_NST_IJLi20EEEEEEENS5_IJS1A_SZ_S10_S11_S12_S1B_S1C_S1D_S1E_S15_S16_S18_S17_S1F_S1G_NST_IJLi22EEEENST_IJLi23ELi24EEEENST_IJLi25EEEEEEENST_IJLi22ELi23ELi24ELi25EEEElEENSB_INS5_IJSR_SP_SP_SR_SG_SG_S2A_S2C_EEENS5_IJSU_SV_SW_SY_SX_SZ_S11_S10_EEENS5_IJS1M_SX_SY_S1N_S11_S12_NST_IJLi9ELi10EEEENST_IJLi11EEEEEEENST_IJLi8ELi9ELi10ELi11EEEElEENS5_IJNSB_INS5_IJSK_SP_SP_NSQ_INS5_IJiS2B_NS27_IiLi64EEEEEELb0EEES2W_EEENS5_IJSU_SV_SW_SX_SY_EEENS5_IJS1M_SX_SY_NST_IJLi5ELi6ELi7EEEENST_IJLi8ELi9ELi10EEEEEEENST_IJLi5ELi6ELi7ELi8ELi9ELi10EEEElEEEEES33_NS_31BlockToCTileMap_M00_N00_M01_N01ILi128ELi128ES1V_Lb0EEENS1_30ComputePtrOffsetOfStridedBatchILi1ELi1ELi1EvEELb1ELb1EEEvPKT0_S3B_T1_PT2_T3_T4_T5_iT6_T7_T8_T9_T10_T11_, .Lfunc_end5-_ZN2ck16tensor_operation6device12_GLOBAL__N_137kernel_grouped_conv_fwd_dl_multiple_dINS_32GridwiseGemmDlMultipleD_km_kn_mnILi256EDF16_fNS_5TupleIJDF16_EEEDF16_NS0_12element_wise11PassThroughES8_NS7_7AddReluELNS_25InMemoryDataOperationEnumE0ENS_16TensorDescriptorINS5_IJNS_5EmbedINS5_IJiiiiEEESD_Lb0EEENS_11PassThroughIiEENS_3PadIiiiLb0EEESI_SG_SG_NSC_INS5_IJiiEEESJ_Lb0EEESK_SG_NS_23Merge_v2_magic_divisionINS5_IJiiiEEEEESN_NS_8RightPadIiiLb0EEESP_NS_7UnMergeISJ_Lb0EEESG_EEENS5_IJNS_8SequenceIJLi0EEEENST_IJLi1EEEENST_IJLi2EEEENST_IJLi3EEEENST_IJLi4EEEENST_IJLi5EEEENST_IJLi6EEEENST_IJLi7EEEENST_IJLi8EEEENST_IJLi9ELi11ELi13EEEENST_IJLi10ELi12ELi14EEEENST_IJLi15EEEENST_IJLi16EEEENST_IJLi18EEEENST_IJLi17EEEEEEENS5_IJNST_IJLi1ELi2ELi3ELi4EEEESZ_S10_S11_S12_NST_IJLi9EEEENST_IJLi10ELi11EEEENST_IJLi12ELi13EEEENST_IJLi14EEEES15_S16_S18_S17_NST_IJLi19ELi20EEEENST_IJLi21EEEEEEENST_IJLi19ELi21ELi20EEEElEENSB_INS5_IJSR_SP_SP_SR_SG_EEENS5_IJSU_SV_SW_SY_SX_EEENS5_IJNST_IJLi1ELi2EEEESX_SY_NST_IJLi5ELi6EEEES11_EEENST_IJLi5ELi7ELi6EEEElEENSB_INS5_IJSK_SP_SP_EEENS5_IJSU_SV_SW_EEENS5_IJS1M_SX_SY_EEENST_IJLi3ELi4EEEElEELi128ELi128ELi16ELi2ELi4ELi4ELi1ENST_IJLi8ELi2EEEES1W_NST_IJLi8ELi1ELi1ELi2EEEENST_IJLi2ELi1ELi128ELi1EEEENST_IJLi1ELi2ELi0ELi3EEEES1Z_NST_IJLi4ELi1ELi1ELi2EEEES1Z_NST_IJLi1ELi1ELi1ELi2EEEES1X_S1Y_S1Z_S1Z_S20_S1Z_S21_NST_IJLi0ELi1ELi2ELi3ELi4ELi5EEEELi5ELi4EEEDF16_NS5_IJPKDF16_EEEDF16_S8_S8_S9_NSB_INS5_IJSE_SG_SI_SI_SG_SG_SK_SK_SG_SN_SN_SP_SP_SR_SG_SG_NSQ_INS5_IJiNS_17integral_constantIiLi128EEEEEELb0EEENSF_INS27_IiLi2EEEEEEEENS5_IJSU_SV_SW_SX_SY_SZ_S10_S11_S12_S13_S14_S15_S16_S17_S18_NST_IJLi19EEEES1G_NST_IJLi20EEEEEEENS5_IJS1A_SZ_S10_S11_S12_S1B_S1C_S1D_S1E_S15_S16_S18_S17_S1F_S1G_NST_IJLi22EEEENST_IJLi23ELi24EEEENST_IJLi25EEEEEEENST_IJLi22ELi23ELi24ELi25EEEElEENSB_INS5_IJSR_SP_SP_SR_SG_SG_S2A_S2C_EEENS5_IJSU_SV_SW_SY_SX_SZ_S11_S10_EEENS5_IJS1M_SX_SY_S1N_S11_S12_NST_IJLi9ELi10EEEENST_IJLi11EEEEEEENST_IJLi8ELi9ELi10ELi11EEEElEENS5_IJNSB_INS5_IJSK_SP_SP_NSQ_INS5_IJiS2B_NS27_IiLi64EEEEEELb0EEES2W_EEENS5_IJSU_SV_SW_SX_SY_EEENS5_IJS1M_SX_SY_NST_IJLi5ELi6ELi7EEEENST_IJLi8ELi9ELi10EEEEEEENST_IJLi5ELi6ELi7ELi8ELi9ELi10EEEElEEEEES33_NS_31BlockToCTileMap_M00_N00_M01_N01ILi128ELi128ES1V_Lb0EEENS1_30ComputePtrOffsetOfStridedBatchILi1ELi1ELi1EvEELb1ELb1EEEvPKT0_S3B_T1_PT2_T3_T4_T5_iT6_T7_T8_T9_T10_T11_
                                        ; -- End function
	.set _ZN2ck16tensor_operation6device12_GLOBAL__N_137kernel_grouped_conv_fwd_dl_multiple_dINS_32GridwiseGemmDlMultipleD_km_kn_mnILi256EDF16_fNS_5TupleIJDF16_EEEDF16_NS0_12element_wise11PassThroughES8_NS7_7AddReluELNS_25InMemoryDataOperationEnumE0ENS_16TensorDescriptorINS5_IJNS_5EmbedINS5_IJiiiiEEESD_Lb0EEENS_11PassThroughIiEENS_3PadIiiiLb0EEESI_SG_SG_NSC_INS5_IJiiEEESJ_Lb0EEESK_SG_NS_23Merge_v2_magic_divisionINS5_IJiiiEEEEESN_NS_8RightPadIiiLb0EEESP_NS_7UnMergeISJ_Lb0EEESG_EEENS5_IJNS_8SequenceIJLi0EEEENST_IJLi1EEEENST_IJLi2EEEENST_IJLi3EEEENST_IJLi4EEEENST_IJLi5EEEENST_IJLi6EEEENST_IJLi7EEEENST_IJLi8EEEENST_IJLi9ELi11ELi13EEEENST_IJLi10ELi12ELi14EEEENST_IJLi15EEEENST_IJLi16EEEENST_IJLi18EEEENST_IJLi17EEEEEEENS5_IJNST_IJLi1ELi2ELi3ELi4EEEESZ_S10_S11_S12_NST_IJLi9EEEENST_IJLi10ELi11EEEENST_IJLi12ELi13EEEENST_IJLi14EEEES15_S16_S18_S17_NST_IJLi19ELi20EEEENST_IJLi21EEEEEEENST_IJLi19ELi21ELi20EEEElEENSB_INS5_IJSR_SP_SP_SR_SG_EEENS5_IJSU_SV_SW_SY_SX_EEENS5_IJNST_IJLi1ELi2EEEESX_SY_NST_IJLi5ELi6EEEES11_EEENST_IJLi5ELi7ELi6EEEElEENSB_INS5_IJSK_SP_SP_EEENS5_IJSU_SV_SW_EEENS5_IJS1M_SX_SY_EEENST_IJLi3ELi4EEEElEELi128ELi128ELi16ELi2ELi4ELi4ELi1ENST_IJLi8ELi2EEEES1W_NST_IJLi8ELi1ELi1ELi2EEEENST_IJLi2ELi1ELi128ELi1EEEENST_IJLi1ELi2ELi0ELi3EEEES1Z_NST_IJLi4ELi1ELi1ELi2EEEES1Z_NST_IJLi1ELi1ELi1ELi2EEEES1X_S1Y_S1Z_S1Z_S20_S1Z_S21_NST_IJLi0ELi1ELi2ELi3ELi4ELi5EEEELi5ELi4EEEDF16_NS5_IJPKDF16_EEEDF16_S8_S8_S9_NSB_INS5_IJSE_SG_SI_SI_SG_SG_SK_SK_SG_SN_SN_SP_SP_SR_SG_SG_NSQ_INS5_IJiNS_17integral_constantIiLi128EEEEEELb0EEENSF_INS27_IiLi2EEEEEEEENS5_IJSU_SV_SW_SX_SY_SZ_S10_S11_S12_S13_S14_S15_S16_S17_S18_NST_IJLi19EEEES1G_NST_IJLi20EEEEEEENS5_IJS1A_SZ_S10_S11_S12_S1B_S1C_S1D_S1E_S15_S16_S18_S17_S1F_S1G_NST_IJLi22EEEENST_IJLi23ELi24EEEENST_IJLi25EEEEEEENST_IJLi22ELi23ELi24ELi25EEEElEENSB_INS5_IJSR_SP_SP_SR_SG_SG_S2A_S2C_EEENS5_IJSU_SV_SW_SY_SX_SZ_S11_S10_EEENS5_IJS1M_SX_SY_S1N_S11_S12_NST_IJLi9ELi10EEEENST_IJLi11EEEEEEENST_IJLi8ELi9ELi10ELi11EEEElEENS5_IJNSB_INS5_IJSK_SP_SP_NSQ_INS5_IJiS2B_NS27_IiLi64EEEEEELb0EEES2W_EEENS5_IJSU_SV_SW_SX_SY_EEENS5_IJS1M_SX_SY_NST_IJLi5ELi6ELi7EEEENST_IJLi8ELi9ELi10EEEEEEENST_IJLi5ELi6ELi7ELi8ELi9ELi10EEEElEEEEES33_NS_31BlockToCTileMap_M00_N00_M01_N01ILi128ELi128ES1V_Lb0EEENS1_30ComputePtrOffsetOfStridedBatchILi1ELi1ELi1EvEELb1ELb1EEEvPKT0_S3B_T1_PT2_T3_T4_T5_iT6_T7_T8_T9_T10_T11_.num_vgpr, 149
	.set _ZN2ck16tensor_operation6device12_GLOBAL__N_137kernel_grouped_conv_fwd_dl_multiple_dINS_32GridwiseGemmDlMultipleD_km_kn_mnILi256EDF16_fNS_5TupleIJDF16_EEEDF16_NS0_12element_wise11PassThroughES8_NS7_7AddReluELNS_25InMemoryDataOperationEnumE0ENS_16TensorDescriptorINS5_IJNS_5EmbedINS5_IJiiiiEEESD_Lb0EEENS_11PassThroughIiEENS_3PadIiiiLb0EEESI_SG_SG_NSC_INS5_IJiiEEESJ_Lb0EEESK_SG_NS_23Merge_v2_magic_divisionINS5_IJiiiEEEEESN_NS_8RightPadIiiLb0EEESP_NS_7UnMergeISJ_Lb0EEESG_EEENS5_IJNS_8SequenceIJLi0EEEENST_IJLi1EEEENST_IJLi2EEEENST_IJLi3EEEENST_IJLi4EEEENST_IJLi5EEEENST_IJLi6EEEENST_IJLi7EEEENST_IJLi8EEEENST_IJLi9ELi11ELi13EEEENST_IJLi10ELi12ELi14EEEENST_IJLi15EEEENST_IJLi16EEEENST_IJLi18EEEENST_IJLi17EEEEEEENS5_IJNST_IJLi1ELi2ELi3ELi4EEEESZ_S10_S11_S12_NST_IJLi9EEEENST_IJLi10ELi11EEEENST_IJLi12ELi13EEEENST_IJLi14EEEES15_S16_S18_S17_NST_IJLi19ELi20EEEENST_IJLi21EEEEEEENST_IJLi19ELi21ELi20EEEElEENSB_INS5_IJSR_SP_SP_SR_SG_EEENS5_IJSU_SV_SW_SY_SX_EEENS5_IJNST_IJLi1ELi2EEEESX_SY_NST_IJLi5ELi6EEEES11_EEENST_IJLi5ELi7ELi6EEEElEENSB_INS5_IJSK_SP_SP_EEENS5_IJSU_SV_SW_EEENS5_IJS1M_SX_SY_EEENST_IJLi3ELi4EEEElEELi128ELi128ELi16ELi2ELi4ELi4ELi1ENST_IJLi8ELi2EEEES1W_NST_IJLi8ELi1ELi1ELi2EEEENST_IJLi2ELi1ELi128ELi1EEEENST_IJLi1ELi2ELi0ELi3EEEES1Z_NST_IJLi4ELi1ELi1ELi2EEEES1Z_NST_IJLi1ELi1ELi1ELi2EEEES1X_S1Y_S1Z_S1Z_S20_S1Z_S21_NST_IJLi0ELi1ELi2ELi3ELi4ELi5EEEELi5ELi4EEEDF16_NS5_IJPKDF16_EEEDF16_S8_S8_S9_NSB_INS5_IJSE_SG_SI_SI_SG_SG_SK_SK_SG_SN_SN_SP_SP_SR_SG_SG_NSQ_INS5_IJiNS_17integral_constantIiLi128EEEEEELb0EEENSF_INS27_IiLi2EEEEEEEENS5_IJSU_SV_SW_SX_SY_SZ_S10_S11_S12_S13_S14_S15_S16_S17_S18_NST_IJLi19EEEES1G_NST_IJLi20EEEEEEENS5_IJS1A_SZ_S10_S11_S12_S1B_S1C_S1D_S1E_S15_S16_S18_S17_S1F_S1G_NST_IJLi22EEEENST_IJLi23ELi24EEEENST_IJLi25EEEEEEENST_IJLi22ELi23ELi24ELi25EEEElEENSB_INS5_IJSR_SP_SP_SR_SG_SG_S2A_S2C_EEENS5_IJSU_SV_SW_SY_SX_SZ_S11_S10_EEENS5_IJS1M_SX_SY_S1N_S11_S12_NST_IJLi9ELi10EEEENST_IJLi11EEEEEEENST_IJLi8ELi9ELi10ELi11EEEElEENS5_IJNSB_INS5_IJSK_SP_SP_NSQ_INS5_IJiS2B_NS27_IiLi64EEEEEELb0EEES2W_EEENS5_IJSU_SV_SW_SX_SY_EEENS5_IJS1M_SX_SY_NST_IJLi5ELi6ELi7EEEENST_IJLi8ELi9ELi10EEEEEEENST_IJLi5ELi6ELi7ELi8ELi9ELi10EEEElEEEEES33_NS_31BlockToCTileMap_M00_N00_M01_N01ILi128ELi128ES1V_Lb0EEENS1_30ComputePtrOffsetOfStridedBatchILi1ELi1ELi1EvEELb1ELb1EEEvPKT0_S3B_T1_PT2_T3_T4_T5_iT6_T7_T8_T9_T10_T11_.num_agpr, 0
	.set _ZN2ck16tensor_operation6device12_GLOBAL__N_137kernel_grouped_conv_fwd_dl_multiple_dINS_32GridwiseGemmDlMultipleD_km_kn_mnILi256EDF16_fNS_5TupleIJDF16_EEEDF16_NS0_12element_wise11PassThroughES8_NS7_7AddReluELNS_25InMemoryDataOperationEnumE0ENS_16TensorDescriptorINS5_IJNS_5EmbedINS5_IJiiiiEEESD_Lb0EEENS_11PassThroughIiEENS_3PadIiiiLb0EEESI_SG_SG_NSC_INS5_IJiiEEESJ_Lb0EEESK_SG_NS_23Merge_v2_magic_divisionINS5_IJiiiEEEEESN_NS_8RightPadIiiLb0EEESP_NS_7UnMergeISJ_Lb0EEESG_EEENS5_IJNS_8SequenceIJLi0EEEENST_IJLi1EEEENST_IJLi2EEEENST_IJLi3EEEENST_IJLi4EEEENST_IJLi5EEEENST_IJLi6EEEENST_IJLi7EEEENST_IJLi8EEEENST_IJLi9ELi11ELi13EEEENST_IJLi10ELi12ELi14EEEENST_IJLi15EEEENST_IJLi16EEEENST_IJLi18EEEENST_IJLi17EEEEEEENS5_IJNST_IJLi1ELi2ELi3ELi4EEEESZ_S10_S11_S12_NST_IJLi9EEEENST_IJLi10ELi11EEEENST_IJLi12ELi13EEEENST_IJLi14EEEES15_S16_S18_S17_NST_IJLi19ELi20EEEENST_IJLi21EEEEEEENST_IJLi19ELi21ELi20EEEElEENSB_INS5_IJSR_SP_SP_SR_SG_EEENS5_IJSU_SV_SW_SY_SX_EEENS5_IJNST_IJLi1ELi2EEEESX_SY_NST_IJLi5ELi6EEEES11_EEENST_IJLi5ELi7ELi6EEEElEENSB_INS5_IJSK_SP_SP_EEENS5_IJSU_SV_SW_EEENS5_IJS1M_SX_SY_EEENST_IJLi3ELi4EEEElEELi128ELi128ELi16ELi2ELi4ELi4ELi1ENST_IJLi8ELi2EEEES1W_NST_IJLi8ELi1ELi1ELi2EEEENST_IJLi2ELi1ELi128ELi1EEEENST_IJLi1ELi2ELi0ELi3EEEES1Z_NST_IJLi4ELi1ELi1ELi2EEEES1Z_NST_IJLi1ELi1ELi1ELi2EEEES1X_S1Y_S1Z_S1Z_S20_S1Z_S21_NST_IJLi0ELi1ELi2ELi3ELi4ELi5EEEELi5ELi4EEEDF16_NS5_IJPKDF16_EEEDF16_S8_S8_S9_NSB_INS5_IJSE_SG_SI_SI_SG_SG_SK_SK_SG_SN_SN_SP_SP_SR_SG_SG_NSQ_INS5_IJiNS_17integral_constantIiLi128EEEEEELb0EEENSF_INS27_IiLi2EEEEEEEENS5_IJSU_SV_SW_SX_SY_SZ_S10_S11_S12_S13_S14_S15_S16_S17_S18_NST_IJLi19EEEES1G_NST_IJLi20EEEEEEENS5_IJS1A_SZ_S10_S11_S12_S1B_S1C_S1D_S1E_S15_S16_S18_S17_S1F_S1G_NST_IJLi22EEEENST_IJLi23ELi24EEEENST_IJLi25EEEEEEENST_IJLi22ELi23ELi24ELi25EEEElEENSB_INS5_IJSR_SP_SP_SR_SG_SG_S2A_S2C_EEENS5_IJSU_SV_SW_SY_SX_SZ_S11_S10_EEENS5_IJS1M_SX_SY_S1N_S11_S12_NST_IJLi9ELi10EEEENST_IJLi11EEEEEEENST_IJLi8ELi9ELi10ELi11EEEElEENS5_IJNSB_INS5_IJSK_SP_SP_NSQ_INS5_IJiS2B_NS27_IiLi64EEEEEELb0EEES2W_EEENS5_IJSU_SV_SW_SX_SY_EEENS5_IJS1M_SX_SY_NST_IJLi5ELi6ELi7EEEENST_IJLi8ELi9ELi10EEEEEEENST_IJLi5ELi6ELi7ELi8ELi9ELi10EEEElEEEEES33_NS_31BlockToCTileMap_M00_N00_M01_N01ILi128ELi128ES1V_Lb0EEENS1_30ComputePtrOffsetOfStridedBatchILi1ELi1ELi1EvEELb1ELb1EEEvPKT0_S3B_T1_PT2_T3_T4_T5_iT6_T7_T8_T9_T10_T11_.numbered_sgpr, 77
	.set _ZN2ck16tensor_operation6device12_GLOBAL__N_137kernel_grouped_conv_fwd_dl_multiple_dINS_32GridwiseGemmDlMultipleD_km_kn_mnILi256EDF16_fNS_5TupleIJDF16_EEEDF16_NS0_12element_wise11PassThroughES8_NS7_7AddReluELNS_25InMemoryDataOperationEnumE0ENS_16TensorDescriptorINS5_IJNS_5EmbedINS5_IJiiiiEEESD_Lb0EEENS_11PassThroughIiEENS_3PadIiiiLb0EEESI_SG_SG_NSC_INS5_IJiiEEESJ_Lb0EEESK_SG_NS_23Merge_v2_magic_divisionINS5_IJiiiEEEEESN_NS_8RightPadIiiLb0EEESP_NS_7UnMergeISJ_Lb0EEESG_EEENS5_IJNS_8SequenceIJLi0EEEENST_IJLi1EEEENST_IJLi2EEEENST_IJLi3EEEENST_IJLi4EEEENST_IJLi5EEEENST_IJLi6EEEENST_IJLi7EEEENST_IJLi8EEEENST_IJLi9ELi11ELi13EEEENST_IJLi10ELi12ELi14EEEENST_IJLi15EEEENST_IJLi16EEEENST_IJLi18EEEENST_IJLi17EEEEEEENS5_IJNST_IJLi1ELi2ELi3ELi4EEEESZ_S10_S11_S12_NST_IJLi9EEEENST_IJLi10ELi11EEEENST_IJLi12ELi13EEEENST_IJLi14EEEES15_S16_S18_S17_NST_IJLi19ELi20EEEENST_IJLi21EEEEEEENST_IJLi19ELi21ELi20EEEElEENSB_INS5_IJSR_SP_SP_SR_SG_EEENS5_IJSU_SV_SW_SY_SX_EEENS5_IJNST_IJLi1ELi2EEEESX_SY_NST_IJLi5ELi6EEEES11_EEENST_IJLi5ELi7ELi6EEEElEENSB_INS5_IJSK_SP_SP_EEENS5_IJSU_SV_SW_EEENS5_IJS1M_SX_SY_EEENST_IJLi3ELi4EEEElEELi128ELi128ELi16ELi2ELi4ELi4ELi1ENST_IJLi8ELi2EEEES1W_NST_IJLi8ELi1ELi1ELi2EEEENST_IJLi2ELi1ELi128ELi1EEEENST_IJLi1ELi2ELi0ELi3EEEES1Z_NST_IJLi4ELi1ELi1ELi2EEEES1Z_NST_IJLi1ELi1ELi1ELi2EEEES1X_S1Y_S1Z_S1Z_S20_S1Z_S21_NST_IJLi0ELi1ELi2ELi3ELi4ELi5EEEELi5ELi4EEEDF16_NS5_IJPKDF16_EEEDF16_S8_S8_S9_NSB_INS5_IJSE_SG_SI_SI_SG_SG_SK_SK_SG_SN_SN_SP_SP_SR_SG_SG_NSQ_INS5_IJiNS_17integral_constantIiLi128EEEEEELb0EEENSF_INS27_IiLi2EEEEEEEENS5_IJSU_SV_SW_SX_SY_SZ_S10_S11_S12_S13_S14_S15_S16_S17_S18_NST_IJLi19EEEES1G_NST_IJLi20EEEEEEENS5_IJS1A_SZ_S10_S11_S12_S1B_S1C_S1D_S1E_S15_S16_S18_S17_S1F_S1G_NST_IJLi22EEEENST_IJLi23ELi24EEEENST_IJLi25EEEEEEENST_IJLi22ELi23ELi24ELi25EEEElEENSB_INS5_IJSR_SP_SP_SR_SG_SG_S2A_S2C_EEENS5_IJSU_SV_SW_SY_SX_SZ_S11_S10_EEENS5_IJS1M_SX_SY_S1N_S11_S12_NST_IJLi9ELi10EEEENST_IJLi11EEEEEEENST_IJLi8ELi9ELi10ELi11EEEElEENS5_IJNSB_INS5_IJSK_SP_SP_NSQ_INS5_IJiS2B_NS27_IiLi64EEEEEELb0EEES2W_EEENS5_IJSU_SV_SW_SX_SY_EEENS5_IJS1M_SX_SY_NST_IJLi5ELi6ELi7EEEENST_IJLi8ELi9ELi10EEEEEEENST_IJLi5ELi6ELi7ELi8ELi9ELi10EEEElEEEEES33_NS_31BlockToCTileMap_M00_N00_M01_N01ILi128ELi128ES1V_Lb0EEENS1_30ComputePtrOffsetOfStridedBatchILi1ELi1ELi1EvEELb1ELb1EEEvPKT0_S3B_T1_PT2_T3_T4_T5_iT6_T7_T8_T9_T10_T11_.num_named_barrier, 0
	.set _ZN2ck16tensor_operation6device12_GLOBAL__N_137kernel_grouped_conv_fwd_dl_multiple_dINS_32GridwiseGemmDlMultipleD_km_kn_mnILi256EDF16_fNS_5TupleIJDF16_EEEDF16_NS0_12element_wise11PassThroughES8_NS7_7AddReluELNS_25InMemoryDataOperationEnumE0ENS_16TensorDescriptorINS5_IJNS_5EmbedINS5_IJiiiiEEESD_Lb0EEENS_11PassThroughIiEENS_3PadIiiiLb0EEESI_SG_SG_NSC_INS5_IJiiEEESJ_Lb0EEESK_SG_NS_23Merge_v2_magic_divisionINS5_IJiiiEEEEESN_NS_8RightPadIiiLb0EEESP_NS_7UnMergeISJ_Lb0EEESG_EEENS5_IJNS_8SequenceIJLi0EEEENST_IJLi1EEEENST_IJLi2EEEENST_IJLi3EEEENST_IJLi4EEEENST_IJLi5EEEENST_IJLi6EEEENST_IJLi7EEEENST_IJLi8EEEENST_IJLi9ELi11ELi13EEEENST_IJLi10ELi12ELi14EEEENST_IJLi15EEEENST_IJLi16EEEENST_IJLi18EEEENST_IJLi17EEEEEEENS5_IJNST_IJLi1ELi2ELi3ELi4EEEESZ_S10_S11_S12_NST_IJLi9EEEENST_IJLi10ELi11EEEENST_IJLi12ELi13EEEENST_IJLi14EEEES15_S16_S18_S17_NST_IJLi19ELi20EEEENST_IJLi21EEEEEEENST_IJLi19ELi21ELi20EEEElEENSB_INS5_IJSR_SP_SP_SR_SG_EEENS5_IJSU_SV_SW_SY_SX_EEENS5_IJNST_IJLi1ELi2EEEESX_SY_NST_IJLi5ELi6EEEES11_EEENST_IJLi5ELi7ELi6EEEElEENSB_INS5_IJSK_SP_SP_EEENS5_IJSU_SV_SW_EEENS5_IJS1M_SX_SY_EEENST_IJLi3ELi4EEEElEELi128ELi128ELi16ELi2ELi4ELi4ELi1ENST_IJLi8ELi2EEEES1W_NST_IJLi8ELi1ELi1ELi2EEEENST_IJLi2ELi1ELi128ELi1EEEENST_IJLi1ELi2ELi0ELi3EEEES1Z_NST_IJLi4ELi1ELi1ELi2EEEES1Z_NST_IJLi1ELi1ELi1ELi2EEEES1X_S1Y_S1Z_S1Z_S20_S1Z_S21_NST_IJLi0ELi1ELi2ELi3ELi4ELi5EEEELi5ELi4EEEDF16_NS5_IJPKDF16_EEEDF16_S8_S8_S9_NSB_INS5_IJSE_SG_SI_SI_SG_SG_SK_SK_SG_SN_SN_SP_SP_SR_SG_SG_NSQ_INS5_IJiNS_17integral_constantIiLi128EEEEEELb0EEENSF_INS27_IiLi2EEEEEEEENS5_IJSU_SV_SW_SX_SY_SZ_S10_S11_S12_S13_S14_S15_S16_S17_S18_NST_IJLi19EEEES1G_NST_IJLi20EEEEEEENS5_IJS1A_SZ_S10_S11_S12_S1B_S1C_S1D_S1E_S15_S16_S18_S17_S1F_S1G_NST_IJLi22EEEENST_IJLi23ELi24EEEENST_IJLi25EEEEEEENST_IJLi22ELi23ELi24ELi25EEEElEENSB_INS5_IJSR_SP_SP_SR_SG_SG_S2A_S2C_EEENS5_IJSU_SV_SW_SY_SX_SZ_S11_S10_EEENS5_IJS1M_SX_SY_S1N_S11_S12_NST_IJLi9ELi10EEEENST_IJLi11EEEEEEENST_IJLi8ELi9ELi10ELi11EEEElEENS5_IJNSB_INS5_IJSK_SP_SP_NSQ_INS5_IJiS2B_NS27_IiLi64EEEEEELb0EEES2W_EEENS5_IJSU_SV_SW_SX_SY_EEENS5_IJS1M_SX_SY_NST_IJLi5ELi6ELi7EEEENST_IJLi8ELi9ELi10EEEEEEENST_IJLi5ELi6ELi7ELi8ELi9ELi10EEEElEEEEES33_NS_31BlockToCTileMap_M00_N00_M01_N01ILi128ELi128ES1V_Lb0EEENS1_30ComputePtrOffsetOfStridedBatchILi1ELi1ELi1EvEELb1ELb1EEEvPKT0_S3B_T1_PT2_T3_T4_T5_iT6_T7_T8_T9_T10_T11_.private_seg_size, 0
	.set _ZN2ck16tensor_operation6device12_GLOBAL__N_137kernel_grouped_conv_fwd_dl_multiple_dINS_32GridwiseGemmDlMultipleD_km_kn_mnILi256EDF16_fNS_5TupleIJDF16_EEEDF16_NS0_12element_wise11PassThroughES8_NS7_7AddReluELNS_25InMemoryDataOperationEnumE0ENS_16TensorDescriptorINS5_IJNS_5EmbedINS5_IJiiiiEEESD_Lb0EEENS_11PassThroughIiEENS_3PadIiiiLb0EEESI_SG_SG_NSC_INS5_IJiiEEESJ_Lb0EEESK_SG_NS_23Merge_v2_magic_divisionINS5_IJiiiEEEEESN_NS_8RightPadIiiLb0EEESP_NS_7UnMergeISJ_Lb0EEESG_EEENS5_IJNS_8SequenceIJLi0EEEENST_IJLi1EEEENST_IJLi2EEEENST_IJLi3EEEENST_IJLi4EEEENST_IJLi5EEEENST_IJLi6EEEENST_IJLi7EEEENST_IJLi8EEEENST_IJLi9ELi11ELi13EEEENST_IJLi10ELi12ELi14EEEENST_IJLi15EEEENST_IJLi16EEEENST_IJLi18EEEENST_IJLi17EEEEEEENS5_IJNST_IJLi1ELi2ELi3ELi4EEEESZ_S10_S11_S12_NST_IJLi9EEEENST_IJLi10ELi11EEEENST_IJLi12ELi13EEEENST_IJLi14EEEES15_S16_S18_S17_NST_IJLi19ELi20EEEENST_IJLi21EEEEEEENST_IJLi19ELi21ELi20EEEElEENSB_INS5_IJSR_SP_SP_SR_SG_EEENS5_IJSU_SV_SW_SY_SX_EEENS5_IJNST_IJLi1ELi2EEEESX_SY_NST_IJLi5ELi6EEEES11_EEENST_IJLi5ELi7ELi6EEEElEENSB_INS5_IJSK_SP_SP_EEENS5_IJSU_SV_SW_EEENS5_IJS1M_SX_SY_EEENST_IJLi3ELi4EEEElEELi128ELi128ELi16ELi2ELi4ELi4ELi1ENST_IJLi8ELi2EEEES1W_NST_IJLi8ELi1ELi1ELi2EEEENST_IJLi2ELi1ELi128ELi1EEEENST_IJLi1ELi2ELi0ELi3EEEES1Z_NST_IJLi4ELi1ELi1ELi2EEEES1Z_NST_IJLi1ELi1ELi1ELi2EEEES1X_S1Y_S1Z_S1Z_S20_S1Z_S21_NST_IJLi0ELi1ELi2ELi3ELi4ELi5EEEELi5ELi4EEEDF16_NS5_IJPKDF16_EEEDF16_S8_S8_S9_NSB_INS5_IJSE_SG_SI_SI_SG_SG_SK_SK_SG_SN_SN_SP_SP_SR_SG_SG_NSQ_INS5_IJiNS_17integral_constantIiLi128EEEEEELb0EEENSF_INS27_IiLi2EEEEEEEENS5_IJSU_SV_SW_SX_SY_SZ_S10_S11_S12_S13_S14_S15_S16_S17_S18_NST_IJLi19EEEES1G_NST_IJLi20EEEEEEENS5_IJS1A_SZ_S10_S11_S12_S1B_S1C_S1D_S1E_S15_S16_S18_S17_S1F_S1G_NST_IJLi22EEEENST_IJLi23ELi24EEEENST_IJLi25EEEEEEENST_IJLi22ELi23ELi24ELi25EEEElEENSB_INS5_IJSR_SP_SP_SR_SG_SG_S2A_S2C_EEENS5_IJSU_SV_SW_SY_SX_SZ_S11_S10_EEENS5_IJS1M_SX_SY_S1N_S11_S12_NST_IJLi9ELi10EEEENST_IJLi11EEEEEEENST_IJLi8ELi9ELi10ELi11EEEElEENS5_IJNSB_INS5_IJSK_SP_SP_NSQ_INS5_IJiS2B_NS27_IiLi64EEEEEELb0EEES2W_EEENS5_IJSU_SV_SW_SX_SY_EEENS5_IJS1M_SX_SY_NST_IJLi5ELi6ELi7EEEENST_IJLi8ELi9ELi10EEEEEEENST_IJLi5ELi6ELi7ELi8ELi9ELi10EEEElEEEEES33_NS_31BlockToCTileMap_M00_N00_M01_N01ILi128ELi128ES1V_Lb0EEENS1_30ComputePtrOffsetOfStridedBatchILi1ELi1ELi1EvEELb1ELb1EEEvPKT0_S3B_T1_PT2_T3_T4_T5_iT6_T7_T8_T9_T10_T11_.uses_vcc, 1
	.set _ZN2ck16tensor_operation6device12_GLOBAL__N_137kernel_grouped_conv_fwd_dl_multiple_dINS_32GridwiseGemmDlMultipleD_km_kn_mnILi256EDF16_fNS_5TupleIJDF16_EEEDF16_NS0_12element_wise11PassThroughES8_NS7_7AddReluELNS_25InMemoryDataOperationEnumE0ENS_16TensorDescriptorINS5_IJNS_5EmbedINS5_IJiiiiEEESD_Lb0EEENS_11PassThroughIiEENS_3PadIiiiLb0EEESI_SG_SG_NSC_INS5_IJiiEEESJ_Lb0EEESK_SG_NS_23Merge_v2_magic_divisionINS5_IJiiiEEEEESN_NS_8RightPadIiiLb0EEESP_NS_7UnMergeISJ_Lb0EEESG_EEENS5_IJNS_8SequenceIJLi0EEEENST_IJLi1EEEENST_IJLi2EEEENST_IJLi3EEEENST_IJLi4EEEENST_IJLi5EEEENST_IJLi6EEEENST_IJLi7EEEENST_IJLi8EEEENST_IJLi9ELi11ELi13EEEENST_IJLi10ELi12ELi14EEEENST_IJLi15EEEENST_IJLi16EEEENST_IJLi18EEEENST_IJLi17EEEEEEENS5_IJNST_IJLi1ELi2ELi3ELi4EEEESZ_S10_S11_S12_NST_IJLi9EEEENST_IJLi10ELi11EEEENST_IJLi12ELi13EEEENST_IJLi14EEEES15_S16_S18_S17_NST_IJLi19ELi20EEEENST_IJLi21EEEEEEENST_IJLi19ELi21ELi20EEEElEENSB_INS5_IJSR_SP_SP_SR_SG_EEENS5_IJSU_SV_SW_SY_SX_EEENS5_IJNST_IJLi1ELi2EEEESX_SY_NST_IJLi5ELi6EEEES11_EEENST_IJLi5ELi7ELi6EEEElEENSB_INS5_IJSK_SP_SP_EEENS5_IJSU_SV_SW_EEENS5_IJS1M_SX_SY_EEENST_IJLi3ELi4EEEElEELi128ELi128ELi16ELi2ELi4ELi4ELi1ENST_IJLi8ELi2EEEES1W_NST_IJLi8ELi1ELi1ELi2EEEENST_IJLi2ELi1ELi128ELi1EEEENST_IJLi1ELi2ELi0ELi3EEEES1Z_NST_IJLi4ELi1ELi1ELi2EEEES1Z_NST_IJLi1ELi1ELi1ELi2EEEES1X_S1Y_S1Z_S1Z_S20_S1Z_S21_NST_IJLi0ELi1ELi2ELi3ELi4ELi5EEEELi5ELi4EEEDF16_NS5_IJPKDF16_EEEDF16_S8_S8_S9_NSB_INS5_IJSE_SG_SI_SI_SG_SG_SK_SK_SG_SN_SN_SP_SP_SR_SG_SG_NSQ_INS5_IJiNS_17integral_constantIiLi128EEEEEELb0EEENSF_INS27_IiLi2EEEEEEEENS5_IJSU_SV_SW_SX_SY_SZ_S10_S11_S12_S13_S14_S15_S16_S17_S18_NST_IJLi19EEEES1G_NST_IJLi20EEEEEEENS5_IJS1A_SZ_S10_S11_S12_S1B_S1C_S1D_S1E_S15_S16_S18_S17_S1F_S1G_NST_IJLi22EEEENST_IJLi23ELi24EEEENST_IJLi25EEEEEEENST_IJLi22ELi23ELi24ELi25EEEElEENSB_INS5_IJSR_SP_SP_SR_SG_SG_S2A_S2C_EEENS5_IJSU_SV_SW_SY_SX_SZ_S11_S10_EEENS5_IJS1M_SX_SY_S1N_S11_S12_NST_IJLi9ELi10EEEENST_IJLi11EEEEEEENST_IJLi8ELi9ELi10ELi11EEEElEENS5_IJNSB_INS5_IJSK_SP_SP_NSQ_INS5_IJiS2B_NS27_IiLi64EEEEEELb0EEES2W_EEENS5_IJSU_SV_SW_SX_SY_EEENS5_IJS1M_SX_SY_NST_IJLi5ELi6ELi7EEEENST_IJLi8ELi9ELi10EEEEEEENST_IJLi5ELi6ELi7ELi8ELi9ELi10EEEElEEEEES33_NS_31BlockToCTileMap_M00_N00_M01_N01ILi128ELi128ES1V_Lb0EEENS1_30ComputePtrOffsetOfStridedBatchILi1ELi1ELi1EvEELb1ELb1EEEvPKT0_S3B_T1_PT2_T3_T4_T5_iT6_T7_T8_T9_T10_T11_.uses_flat_scratch, 0
	.set _ZN2ck16tensor_operation6device12_GLOBAL__N_137kernel_grouped_conv_fwd_dl_multiple_dINS_32GridwiseGemmDlMultipleD_km_kn_mnILi256EDF16_fNS_5TupleIJDF16_EEEDF16_NS0_12element_wise11PassThroughES8_NS7_7AddReluELNS_25InMemoryDataOperationEnumE0ENS_16TensorDescriptorINS5_IJNS_5EmbedINS5_IJiiiiEEESD_Lb0EEENS_11PassThroughIiEENS_3PadIiiiLb0EEESI_SG_SG_NSC_INS5_IJiiEEESJ_Lb0EEESK_SG_NS_23Merge_v2_magic_divisionINS5_IJiiiEEEEESN_NS_8RightPadIiiLb0EEESP_NS_7UnMergeISJ_Lb0EEESG_EEENS5_IJNS_8SequenceIJLi0EEEENST_IJLi1EEEENST_IJLi2EEEENST_IJLi3EEEENST_IJLi4EEEENST_IJLi5EEEENST_IJLi6EEEENST_IJLi7EEEENST_IJLi8EEEENST_IJLi9ELi11ELi13EEEENST_IJLi10ELi12ELi14EEEENST_IJLi15EEEENST_IJLi16EEEENST_IJLi18EEEENST_IJLi17EEEEEEENS5_IJNST_IJLi1ELi2ELi3ELi4EEEESZ_S10_S11_S12_NST_IJLi9EEEENST_IJLi10ELi11EEEENST_IJLi12ELi13EEEENST_IJLi14EEEES15_S16_S18_S17_NST_IJLi19ELi20EEEENST_IJLi21EEEEEEENST_IJLi19ELi21ELi20EEEElEENSB_INS5_IJSR_SP_SP_SR_SG_EEENS5_IJSU_SV_SW_SY_SX_EEENS5_IJNST_IJLi1ELi2EEEESX_SY_NST_IJLi5ELi6EEEES11_EEENST_IJLi5ELi7ELi6EEEElEENSB_INS5_IJSK_SP_SP_EEENS5_IJSU_SV_SW_EEENS5_IJS1M_SX_SY_EEENST_IJLi3ELi4EEEElEELi128ELi128ELi16ELi2ELi4ELi4ELi1ENST_IJLi8ELi2EEEES1W_NST_IJLi8ELi1ELi1ELi2EEEENST_IJLi2ELi1ELi128ELi1EEEENST_IJLi1ELi2ELi0ELi3EEEES1Z_NST_IJLi4ELi1ELi1ELi2EEEES1Z_NST_IJLi1ELi1ELi1ELi2EEEES1X_S1Y_S1Z_S1Z_S20_S1Z_S21_NST_IJLi0ELi1ELi2ELi3ELi4ELi5EEEELi5ELi4EEEDF16_NS5_IJPKDF16_EEEDF16_S8_S8_S9_NSB_INS5_IJSE_SG_SI_SI_SG_SG_SK_SK_SG_SN_SN_SP_SP_SR_SG_SG_NSQ_INS5_IJiNS_17integral_constantIiLi128EEEEEELb0EEENSF_INS27_IiLi2EEEEEEEENS5_IJSU_SV_SW_SX_SY_SZ_S10_S11_S12_S13_S14_S15_S16_S17_S18_NST_IJLi19EEEES1G_NST_IJLi20EEEEEEENS5_IJS1A_SZ_S10_S11_S12_S1B_S1C_S1D_S1E_S15_S16_S18_S17_S1F_S1G_NST_IJLi22EEEENST_IJLi23ELi24EEEENST_IJLi25EEEEEEENST_IJLi22ELi23ELi24ELi25EEEElEENSB_INS5_IJSR_SP_SP_SR_SG_SG_S2A_S2C_EEENS5_IJSU_SV_SW_SY_SX_SZ_S11_S10_EEENS5_IJS1M_SX_SY_S1N_S11_S12_NST_IJLi9ELi10EEEENST_IJLi11EEEEEEENST_IJLi8ELi9ELi10ELi11EEEElEENS5_IJNSB_INS5_IJSK_SP_SP_NSQ_INS5_IJiS2B_NS27_IiLi64EEEEEELb0EEES2W_EEENS5_IJSU_SV_SW_SX_SY_EEENS5_IJS1M_SX_SY_NST_IJLi5ELi6ELi7EEEENST_IJLi8ELi9ELi10EEEEEEENST_IJLi5ELi6ELi7ELi8ELi9ELi10EEEElEEEEES33_NS_31BlockToCTileMap_M00_N00_M01_N01ILi128ELi128ES1V_Lb0EEENS1_30ComputePtrOffsetOfStridedBatchILi1ELi1ELi1EvEELb1ELb1EEEvPKT0_S3B_T1_PT2_T3_T4_T5_iT6_T7_T8_T9_T10_T11_.has_dyn_sized_stack, 0
	.set _ZN2ck16tensor_operation6device12_GLOBAL__N_137kernel_grouped_conv_fwd_dl_multiple_dINS_32GridwiseGemmDlMultipleD_km_kn_mnILi256EDF16_fNS_5TupleIJDF16_EEEDF16_NS0_12element_wise11PassThroughES8_NS7_7AddReluELNS_25InMemoryDataOperationEnumE0ENS_16TensorDescriptorINS5_IJNS_5EmbedINS5_IJiiiiEEESD_Lb0EEENS_11PassThroughIiEENS_3PadIiiiLb0EEESI_SG_SG_NSC_INS5_IJiiEEESJ_Lb0EEESK_SG_NS_23Merge_v2_magic_divisionINS5_IJiiiEEEEESN_NS_8RightPadIiiLb0EEESP_NS_7UnMergeISJ_Lb0EEESG_EEENS5_IJNS_8SequenceIJLi0EEEENST_IJLi1EEEENST_IJLi2EEEENST_IJLi3EEEENST_IJLi4EEEENST_IJLi5EEEENST_IJLi6EEEENST_IJLi7EEEENST_IJLi8EEEENST_IJLi9ELi11ELi13EEEENST_IJLi10ELi12ELi14EEEENST_IJLi15EEEENST_IJLi16EEEENST_IJLi18EEEENST_IJLi17EEEEEEENS5_IJNST_IJLi1ELi2ELi3ELi4EEEESZ_S10_S11_S12_NST_IJLi9EEEENST_IJLi10ELi11EEEENST_IJLi12ELi13EEEENST_IJLi14EEEES15_S16_S18_S17_NST_IJLi19ELi20EEEENST_IJLi21EEEEEEENST_IJLi19ELi21ELi20EEEElEENSB_INS5_IJSR_SP_SP_SR_SG_EEENS5_IJSU_SV_SW_SY_SX_EEENS5_IJNST_IJLi1ELi2EEEESX_SY_NST_IJLi5ELi6EEEES11_EEENST_IJLi5ELi7ELi6EEEElEENSB_INS5_IJSK_SP_SP_EEENS5_IJSU_SV_SW_EEENS5_IJS1M_SX_SY_EEENST_IJLi3ELi4EEEElEELi128ELi128ELi16ELi2ELi4ELi4ELi1ENST_IJLi8ELi2EEEES1W_NST_IJLi8ELi1ELi1ELi2EEEENST_IJLi2ELi1ELi128ELi1EEEENST_IJLi1ELi2ELi0ELi3EEEES1Z_NST_IJLi4ELi1ELi1ELi2EEEES1Z_NST_IJLi1ELi1ELi1ELi2EEEES1X_S1Y_S1Z_S1Z_S20_S1Z_S21_NST_IJLi0ELi1ELi2ELi3ELi4ELi5EEEELi5ELi4EEEDF16_NS5_IJPKDF16_EEEDF16_S8_S8_S9_NSB_INS5_IJSE_SG_SI_SI_SG_SG_SK_SK_SG_SN_SN_SP_SP_SR_SG_SG_NSQ_INS5_IJiNS_17integral_constantIiLi128EEEEEELb0EEENSF_INS27_IiLi2EEEEEEEENS5_IJSU_SV_SW_SX_SY_SZ_S10_S11_S12_S13_S14_S15_S16_S17_S18_NST_IJLi19EEEES1G_NST_IJLi20EEEEEEENS5_IJS1A_SZ_S10_S11_S12_S1B_S1C_S1D_S1E_S15_S16_S18_S17_S1F_S1G_NST_IJLi22EEEENST_IJLi23ELi24EEEENST_IJLi25EEEEEEENST_IJLi22ELi23ELi24ELi25EEEElEENSB_INS5_IJSR_SP_SP_SR_SG_SG_S2A_S2C_EEENS5_IJSU_SV_SW_SY_SX_SZ_S11_S10_EEENS5_IJS1M_SX_SY_S1N_S11_S12_NST_IJLi9ELi10EEEENST_IJLi11EEEEEEENST_IJLi8ELi9ELi10ELi11EEEElEENS5_IJNSB_INS5_IJSK_SP_SP_NSQ_INS5_IJiS2B_NS27_IiLi64EEEEEELb0EEES2W_EEENS5_IJSU_SV_SW_SX_SY_EEENS5_IJS1M_SX_SY_NST_IJLi5ELi6ELi7EEEENST_IJLi8ELi9ELi10EEEEEEENST_IJLi5ELi6ELi7ELi8ELi9ELi10EEEElEEEEES33_NS_31BlockToCTileMap_M00_N00_M01_N01ILi128ELi128ES1V_Lb0EEENS1_30ComputePtrOffsetOfStridedBatchILi1ELi1ELi1EvEELb1ELb1EEEvPKT0_S3B_T1_PT2_T3_T4_T5_iT6_T7_T8_T9_T10_T11_.has_recursion, 0
	.set _ZN2ck16tensor_operation6device12_GLOBAL__N_137kernel_grouped_conv_fwd_dl_multiple_dINS_32GridwiseGemmDlMultipleD_km_kn_mnILi256EDF16_fNS_5TupleIJDF16_EEEDF16_NS0_12element_wise11PassThroughES8_NS7_7AddReluELNS_25InMemoryDataOperationEnumE0ENS_16TensorDescriptorINS5_IJNS_5EmbedINS5_IJiiiiEEESD_Lb0EEENS_11PassThroughIiEENS_3PadIiiiLb0EEESI_SG_SG_NSC_INS5_IJiiEEESJ_Lb0EEESK_SG_NS_23Merge_v2_magic_divisionINS5_IJiiiEEEEESN_NS_8RightPadIiiLb0EEESP_NS_7UnMergeISJ_Lb0EEESG_EEENS5_IJNS_8SequenceIJLi0EEEENST_IJLi1EEEENST_IJLi2EEEENST_IJLi3EEEENST_IJLi4EEEENST_IJLi5EEEENST_IJLi6EEEENST_IJLi7EEEENST_IJLi8EEEENST_IJLi9ELi11ELi13EEEENST_IJLi10ELi12ELi14EEEENST_IJLi15EEEENST_IJLi16EEEENST_IJLi18EEEENST_IJLi17EEEEEEENS5_IJNST_IJLi1ELi2ELi3ELi4EEEESZ_S10_S11_S12_NST_IJLi9EEEENST_IJLi10ELi11EEEENST_IJLi12ELi13EEEENST_IJLi14EEEES15_S16_S18_S17_NST_IJLi19ELi20EEEENST_IJLi21EEEEEEENST_IJLi19ELi21ELi20EEEElEENSB_INS5_IJSR_SP_SP_SR_SG_EEENS5_IJSU_SV_SW_SY_SX_EEENS5_IJNST_IJLi1ELi2EEEESX_SY_NST_IJLi5ELi6EEEES11_EEENST_IJLi5ELi7ELi6EEEElEENSB_INS5_IJSK_SP_SP_EEENS5_IJSU_SV_SW_EEENS5_IJS1M_SX_SY_EEENST_IJLi3ELi4EEEElEELi128ELi128ELi16ELi2ELi4ELi4ELi1ENST_IJLi8ELi2EEEES1W_NST_IJLi8ELi1ELi1ELi2EEEENST_IJLi2ELi1ELi128ELi1EEEENST_IJLi1ELi2ELi0ELi3EEEES1Z_NST_IJLi4ELi1ELi1ELi2EEEES1Z_NST_IJLi1ELi1ELi1ELi2EEEES1X_S1Y_S1Z_S1Z_S20_S1Z_S21_NST_IJLi0ELi1ELi2ELi3ELi4ELi5EEEELi5ELi4EEEDF16_NS5_IJPKDF16_EEEDF16_S8_S8_S9_NSB_INS5_IJSE_SG_SI_SI_SG_SG_SK_SK_SG_SN_SN_SP_SP_SR_SG_SG_NSQ_INS5_IJiNS_17integral_constantIiLi128EEEEEELb0EEENSF_INS27_IiLi2EEEEEEEENS5_IJSU_SV_SW_SX_SY_SZ_S10_S11_S12_S13_S14_S15_S16_S17_S18_NST_IJLi19EEEES1G_NST_IJLi20EEEEEEENS5_IJS1A_SZ_S10_S11_S12_S1B_S1C_S1D_S1E_S15_S16_S18_S17_S1F_S1G_NST_IJLi22EEEENST_IJLi23ELi24EEEENST_IJLi25EEEEEEENST_IJLi22ELi23ELi24ELi25EEEElEENSB_INS5_IJSR_SP_SP_SR_SG_SG_S2A_S2C_EEENS5_IJSU_SV_SW_SY_SX_SZ_S11_S10_EEENS5_IJS1M_SX_SY_S1N_S11_S12_NST_IJLi9ELi10EEEENST_IJLi11EEEEEEENST_IJLi8ELi9ELi10ELi11EEEElEENS5_IJNSB_INS5_IJSK_SP_SP_NSQ_INS5_IJiS2B_NS27_IiLi64EEEEEELb0EEES2W_EEENS5_IJSU_SV_SW_SX_SY_EEENS5_IJS1M_SX_SY_NST_IJLi5ELi6ELi7EEEENST_IJLi8ELi9ELi10EEEEEEENST_IJLi5ELi6ELi7ELi8ELi9ELi10EEEElEEEEES33_NS_31BlockToCTileMap_M00_N00_M01_N01ILi128ELi128ES1V_Lb0EEENS1_30ComputePtrOffsetOfStridedBatchILi1ELi1ELi1EvEELb1ELb1EEEvPKT0_S3B_T1_PT2_T3_T4_T5_iT6_T7_T8_T9_T10_T11_.has_indirect_call, 0
	.section	.AMDGPU.csdata,"",@progbits
; Kernel info:
; codeLenInByte = 26384
; TotalNumSgprs: 79
; NumVgprs: 149
; ScratchSize: 0
; MemoryBound: 0
; FloatMode: 240
; IeeeMode: 1
; LDSByteSize: 32768 bytes/workgroup (compile time only)
; SGPRBlocks: 0
; VGPRBlocks: 18
; NumSGPRsForWavesPerEU: 79
; NumVGPRsForWavesPerEU: 149
; Occupancy: 6
; WaveLimiterHint : 0
; COMPUTE_PGM_RSRC2:SCRATCH_EN: 0
; COMPUTE_PGM_RSRC2:USER_SGPR: 6
; COMPUTE_PGM_RSRC2:TRAP_HANDLER: 0
; COMPUTE_PGM_RSRC2:TGID_X_EN: 1
; COMPUTE_PGM_RSRC2:TGID_Y_EN: 0
; COMPUTE_PGM_RSRC2:TGID_Z_EN: 0
; COMPUTE_PGM_RSRC2:TIDIG_COMP_CNT: 0
	.section	.text._ZN2ck16tensor_operation6device12_GLOBAL__N_137kernel_grouped_conv_fwd_dl_multiple_dINS_32GridwiseGemmDlMultipleD_km_kn_mnILi256EDF16_fNS_5TupleIJDF16_EEEDF16_NS0_12element_wise11PassThroughES8_NS7_7AddReluELNS_25InMemoryDataOperationEnumE0ENS_16TensorDescriptorINS5_IJNS_5EmbedINS5_IJiiiiEEESD_Lb0EEENS_11PassThroughIiEENS_3PadIiiiLb0EEESI_SG_SG_NSC_INS5_IJiiEEESJ_Lb0EEESK_SG_NS_23Merge_v2_magic_divisionINS5_IJiiiEEEEESN_NS_8RightPadIiiLb0EEESP_NS_7UnMergeISJ_Lb0EEESG_EEENS5_IJNS_8SequenceIJLi0EEEENST_IJLi1EEEENST_IJLi2EEEENST_IJLi3EEEENST_IJLi4EEEENST_IJLi5EEEENST_IJLi6EEEENST_IJLi7EEEENST_IJLi8EEEENST_IJLi9ELi11ELi13EEEENST_IJLi10ELi12ELi14EEEENST_IJLi15EEEENST_IJLi16EEEENST_IJLi18EEEENST_IJLi17EEEEEEENS5_IJNST_IJLi1ELi2ELi3ELi4EEEESZ_S10_S11_S12_NST_IJLi9EEEENST_IJLi10ELi11EEEENST_IJLi12ELi13EEEENST_IJLi14EEEES15_S16_S18_S17_NST_IJLi19ELi20EEEENST_IJLi21EEEEEEENST_IJLi19ELi21ELi20EEEElEENSB_INS5_IJSR_SP_SP_SR_SG_EEENS5_IJSU_SV_SW_SY_SX_EEENS5_IJNST_IJLi1ELi2EEEESX_SY_NST_IJLi5ELi6EEEES11_EEENST_IJLi5ELi7ELi6EEEElEENSB_INS5_IJSK_SP_SP_EEENS5_IJSU_SV_SW_EEENS5_IJS1M_SX_SY_EEENST_IJLi3ELi4EEEElEELi128ELi128ELi16ELi2ELi4ELi4ELi1ENST_IJLi8ELi2EEEES1W_NST_IJLi8ELi1ELi1ELi2EEEENST_IJLi2ELi1ELi128ELi1EEEENST_IJLi1ELi2ELi0ELi3EEEES1Z_NST_IJLi4ELi1ELi1ELi2EEEES1Z_NST_IJLi1ELi1ELi1ELi2EEEES1X_S1Y_S1Z_S1Z_S20_S1Z_S21_NST_IJLi0ELi1ELi2ELi3ELi4ELi5EEEELi5ELi4EEEDF16_NS5_IJPKDF16_EEEDF16_S8_S8_S9_NSB_INS5_IJSE_SG_SI_SI_SG_SG_SK_SK_SG_SN_SN_SP_SP_SR_SG_SG_NSQ_INS5_IJiNS_17integral_constantIiLi128EEEEEELb0EEENSF_INS27_IiLi2EEEEEEEENS5_IJSU_SV_SW_SX_SY_SZ_S10_S11_S12_S13_S14_S15_S16_S17_S18_NST_IJLi19EEEES1G_NST_IJLi20EEEEEEENS5_IJS1A_SZ_S10_S11_S12_S1B_S1C_S1D_S1E_S15_S16_S18_S17_S1F_S1G_NST_IJLi22EEEENST_IJLi23ELi24EEEENST_IJLi25EEEEEEENST_IJLi22ELi23ELi24ELi25EEEElEENSB_INS5_IJSR_SP_SP_SR_SG_SG_S2A_S2C_EEENS5_IJSU_SV_SW_SY_SX_SZ_S11_S10_EEENS5_IJS1M_SX_SY_S1N_S11_S12_NST_IJLi9ELi10EEEENST_IJLi11EEEEEEENST_IJLi8ELi9ELi10ELi11EEEElEENS5_IJNSB_INS5_IJSK_SP_SP_NSQ_INS5_IJiS2B_NS27_IiLi64EEEEEELb0EEES2W_EEENS5_IJSU_SV_SW_SX_SY_EEENS5_IJS1M_SX_SY_NST_IJLi5ELi6ELi7EEEENST_IJLi8ELi9ELi10EEEEEEENST_IJLi5ELi6ELi7ELi8ELi9ELi10EEEElEEEEES33_NS_31BlockToCTileMap_M00_N00_M01_N01ILi128ELi128ES1V_Lb0EEENS1_30ComputePtrOffsetOfStridedBatchILi1ELi1ELi1EvEELb1ELb0EEEvPKT0_S3B_T1_PT2_T3_T4_T5_iT6_T7_T8_T9_T10_T11_,"axG",@progbits,_ZN2ck16tensor_operation6device12_GLOBAL__N_137kernel_grouped_conv_fwd_dl_multiple_dINS_32GridwiseGemmDlMultipleD_km_kn_mnILi256EDF16_fNS_5TupleIJDF16_EEEDF16_NS0_12element_wise11PassThroughES8_NS7_7AddReluELNS_25InMemoryDataOperationEnumE0ENS_16TensorDescriptorINS5_IJNS_5EmbedINS5_IJiiiiEEESD_Lb0EEENS_11PassThroughIiEENS_3PadIiiiLb0EEESI_SG_SG_NSC_INS5_IJiiEEESJ_Lb0EEESK_SG_NS_23Merge_v2_magic_divisionINS5_IJiiiEEEEESN_NS_8RightPadIiiLb0EEESP_NS_7UnMergeISJ_Lb0EEESG_EEENS5_IJNS_8SequenceIJLi0EEEENST_IJLi1EEEENST_IJLi2EEEENST_IJLi3EEEENST_IJLi4EEEENST_IJLi5EEEENST_IJLi6EEEENST_IJLi7EEEENST_IJLi8EEEENST_IJLi9ELi11ELi13EEEENST_IJLi10ELi12ELi14EEEENST_IJLi15EEEENST_IJLi16EEEENST_IJLi18EEEENST_IJLi17EEEEEEENS5_IJNST_IJLi1ELi2ELi3ELi4EEEESZ_S10_S11_S12_NST_IJLi9EEEENST_IJLi10ELi11EEEENST_IJLi12ELi13EEEENST_IJLi14EEEES15_S16_S18_S17_NST_IJLi19ELi20EEEENST_IJLi21EEEEEEENST_IJLi19ELi21ELi20EEEElEENSB_INS5_IJSR_SP_SP_SR_SG_EEENS5_IJSU_SV_SW_SY_SX_EEENS5_IJNST_IJLi1ELi2EEEESX_SY_NST_IJLi5ELi6EEEES11_EEENST_IJLi5ELi7ELi6EEEElEENSB_INS5_IJSK_SP_SP_EEENS5_IJSU_SV_SW_EEENS5_IJS1M_SX_SY_EEENST_IJLi3ELi4EEEElEELi128ELi128ELi16ELi2ELi4ELi4ELi1ENST_IJLi8ELi2EEEES1W_NST_IJLi8ELi1ELi1ELi2EEEENST_IJLi2ELi1ELi128ELi1EEEENST_IJLi1ELi2ELi0ELi3EEEES1Z_NST_IJLi4ELi1ELi1ELi2EEEES1Z_NST_IJLi1ELi1ELi1ELi2EEEES1X_S1Y_S1Z_S1Z_S20_S1Z_S21_NST_IJLi0ELi1ELi2ELi3ELi4ELi5EEEELi5ELi4EEEDF16_NS5_IJPKDF16_EEEDF16_S8_S8_S9_NSB_INS5_IJSE_SG_SI_SI_SG_SG_SK_SK_SG_SN_SN_SP_SP_SR_SG_SG_NSQ_INS5_IJiNS_17integral_constantIiLi128EEEEEELb0EEENSF_INS27_IiLi2EEEEEEEENS5_IJSU_SV_SW_SX_SY_SZ_S10_S11_S12_S13_S14_S15_S16_S17_S18_NST_IJLi19EEEES1G_NST_IJLi20EEEEEEENS5_IJS1A_SZ_S10_S11_S12_S1B_S1C_S1D_S1E_S15_S16_S18_S17_S1F_S1G_NST_IJLi22EEEENST_IJLi23ELi24EEEENST_IJLi25EEEEEEENST_IJLi22ELi23ELi24ELi25EEEElEENSB_INS5_IJSR_SP_SP_SR_SG_SG_S2A_S2C_EEENS5_IJSU_SV_SW_SY_SX_SZ_S11_S10_EEENS5_IJS1M_SX_SY_S1N_S11_S12_NST_IJLi9ELi10EEEENST_IJLi11EEEEEEENST_IJLi8ELi9ELi10ELi11EEEElEENS5_IJNSB_INS5_IJSK_SP_SP_NSQ_INS5_IJiS2B_NS27_IiLi64EEEEEELb0EEES2W_EEENS5_IJSU_SV_SW_SX_SY_EEENS5_IJS1M_SX_SY_NST_IJLi5ELi6ELi7EEEENST_IJLi8ELi9ELi10EEEEEEENST_IJLi5ELi6ELi7ELi8ELi9ELi10EEEElEEEEES33_NS_31BlockToCTileMap_M00_N00_M01_N01ILi128ELi128ES1V_Lb0EEENS1_30ComputePtrOffsetOfStridedBatchILi1ELi1ELi1EvEELb1ELb0EEEvPKT0_S3B_T1_PT2_T3_T4_T5_iT6_T7_T8_T9_T10_T11_,comdat
	.globl	_ZN2ck16tensor_operation6device12_GLOBAL__N_137kernel_grouped_conv_fwd_dl_multiple_dINS_32GridwiseGemmDlMultipleD_km_kn_mnILi256EDF16_fNS_5TupleIJDF16_EEEDF16_NS0_12element_wise11PassThroughES8_NS7_7AddReluELNS_25InMemoryDataOperationEnumE0ENS_16TensorDescriptorINS5_IJNS_5EmbedINS5_IJiiiiEEESD_Lb0EEENS_11PassThroughIiEENS_3PadIiiiLb0EEESI_SG_SG_NSC_INS5_IJiiEEESJ_Lb0EEESK_SG_NS_23Merge_v2_magic_divisionINS5_IJiiiEEEEESN_NS_8RightPadIiiLb0EEESP_NS_7UnMergeISJ_Lb0EEESG_EEENS5_IJNS_8SequenceIJLi0EEEENST_IJLi1EEEENST_IJLi2EEEENST_IJLi3EEEENST_IJLi4EEEENST_IJLi5EEEENST_IJLi6EEEENST_IJLi7EEEENST_IJLi8EEEENST_IJLi9ELi11ELi13EEEENST_IJLi10ELi12ELi14EEEENST_IJLi15EEEENST_IJLi16EEEENST_IJLi18EEEENST_IJLi17EEEEEEENS5_IJNST_IJLi1ELi2ELi3ELi4EEEESZ_S10_S11_S12_NST_IJLi9EEEENST_IJLi10ELi11EEEENST_IJLi12ELi13EEEENST_IJLi14EEEES15_S16_S18_S17_NST_IJLi19ELi20EEEENST_IJLi21EEEEEEENST_IJLi19ELi21ELi20EEEElEENSB_INS5_IJSR_SP_SP_SR_SG_EEENS5_IJSU_SV_SW_SY_SX_EEENS5_IJNST_IJLi1ELi2EEEESX_SY_NST_IJLi5ELi6EEEES11_EEENST_IJLi5ELi7ELi6EEEElEENSB_INS5_IJSK_SP_SP_EEENS5_IJSU_SV_SW_EEENS5_IJS1M_SX_SY_EEENST_IJLi3ELi4EEEElEELi128ELi128ELi16ELi2ELi4ELi4ELi1ENST_IJLi8ELi2EEEES1W_NST_IJLi8ELi1ELi1ELi2EEEENST_IJLi2ELi1ELi128ELi1EEEENST_IJLi1ELi2ELi0ELi3EEEES1Z_NST_IJLi4ELi1ELi1ELi2EEEES1Z_NST_IJLi1ELi1ELi1ELi2EEEES1X_S1Y_S1Z_S1Z_S20_S1Z_S21_NST_IJLi0ELi1ELi2ELi3ELi4ELi5EEEELi5ELi4EEEDF16_NS5_IJPKDF16_EEEDF16_S8_S8_S9_NSB_INS5_IJSE_SG_SI_SI_SG_SG_SK_SK_SG_SN_SN_SP_SP_SR_SG_SG_NSQ_INS5_IJiNS_17integral_constantIiLi128EEEEEELb0EEENSF_INS27_IiLi2EEEEEEEENS5_IJSU_SV_SW_SX_SY_SZ_S10_S11_S12_S13_S14_S15_S16_S17_S18_NST_IJLi19EEEES1G_NST_IJLi20EEEEEEENS5_IJS1A_SZ_S10_S11_S12_S1B_S1C_S1D_S1E_S15_S16_S18_S17_S1F_S1G_NST_IJLi22EEEENST_IJLi23ELi24EEEENST_IJLi25EEEEEEENST_IJLi22ELi23ELi24ELi25EEEElEENSB_INS5_IJSR_SP_SP_SR_SG_SG_S2A_S2C_EEENS5_IJSU_SV_SW_SY_SX_SZ_S11_S10_EEENS5_IJS1M_SX_SY_S1N_S11_S12_NST_IJLi9ELi10EEEENST_IJLi11EEEEEEENST_IJLi8ELi9ELi10ELi11EEEElEENS5_IJNSB_INS5_IJSK_SP_SP_NSQ_INS5_IJiS2B_NS27_IiLi64EEEEEELb0EEES2W_EEENS5_IJSU_SV_SW_SX_SY_EEENS5_IJS1M_SX_SY_NST_IJLi5ELi6ELi7EEEENST_IJLi8ELi9ELi10EEEEEEENST_IJLi5ELi6ELi7ELi8ELi9ELi10EEEElEEEEES33_NS_31BlockToCTileMap_M00_N00_M01_N01ILi128ELi128ES1V_Lb0EEENS1_30ComputePtrOffsetOfStridedBatchILi1ELi1ELi1EvEELb1ELb0EEEvPKT0_S3B_T1_PT2_T3_T4_T5_iT6_T7_T8_T9_T10_T11_ ; -- Begin function _ZN2ck16tensor_operation6device12_GLOBAL__N_137kernel_grouped_conv_fwd_dl_multiple_dINS_32GridwiseGemmDlMultipleD_km_kn_mnILi256EDF16_fNS_5TupleIJDF16_EEEDF16_NS0_12element_wise11PassThroughES8_NS7_7AddReluELNS_25InMemoryDataOperationEnumE0ENS_16TensorDescriptorINS5_IJNS_5EmbedINS5_IJiiiiEEESD_Lb0EEENS_11PassThroughIiEENS_3PadIiiiLb0EEESI_SG_SG_NSC_INS5_IJiiEEESJ_Lb0EEESK_SG_NS_23Merge_v2_magic_divisionINS5_IJiiiEEEEESN_NS_8RightPadIiiLb0EEESP_NS_7UnMergeISJ_Lb0EEESG_EEENS5_IJNS_8SequenceIJLi0EEEENST_IJLi1EEEENST_IJLi2EEEENST_IJLi3EEEENST_IJLi4EEEENST_IJLi5EEEENST_IJLi6EEEENST_IJLi7EEEENST_IJLi8EEEENST_IJLi9ELi11ELi13EEEENST_IJLi10ELi12ELi14EEEENST_IJLi15EEEENST_IJLi16EEEENST_IJLi18EEEENST_IJLi17EEEEEEENS5_IJNST_IJLi1ELi2ELi3ELi4EEEESZ_S10_S11_S12_NST_IJLi9EEEENST_IJLi10ELi11EEEENST_IJLi12ELi13EEEENST_IJLi14EEEES15_S16_S18_S17_NST_IJLi19ELi20EEEENST_IJLi21EEEEEEENST_IJLi19ELi21ELi20EEEElEENSB_INS5_IJSR_SP_SP_SR_SG_EEENS5_IJSU_SV_SW_SY_SX_EEENS5_IJNST_IJLi1ELi2EEEESX_SY_NST_IJLi5ELi6EEEES11_EEENST_IJLi5ELi7ELi6EEEElEENSB_INS5_IJSK_SP_SP_EEENS5_IJSU_SV_SW_EEENS5_IJS1M_SX_SY_EEENST_IJLi3ELi4EEEElEELi128ELi128ELi16ELi2ELi4ELi4ELi1ENST_IJLi8ELi2EEEES1W_NST_IJLi8ELi1ELi1ELi2EEEENST_IJLi2ELi1ELi128ELi1EEEENST_IJLi1ELi2ELi0ELi3EEEES1Z_NST_IJLi4ELi1ELi1ELi2EEEES1Z_NST_IJLi1ELi1ELi1ELi2EEEES1X_S1Y_S1Z_S1Z_S20_S1Z_S21_NST_IJLi0ELi1ELi2ELi3ELi4ELi5EEEELi5ELi4EEEDF16_NS5_IJPKDF16_EEEDF16_S8_S8_S9_NSB_INS5_IJSE_SG_SI_SI_SG_SG_SK_SK_SG_SN_SN_SP_SP_SR_SG_SG_NSQ_INS5_IJiNS_17integral_constantIiLi128EEEEEELb0EEENSF_INS27_IiLi2EEEEEEEENS5_IJSU_SV_SW_SX_SY_SZ_S10_S11_S12_S13_S14_S15_S16_S17_S18_NST_IJLi19EEEES1G_NST_IJLi20EEEEEEENS5_IJS1A_SZ_S10_S11_S12_S1B_S1C_S1D_S1E_S15_S16_S18_S17_S1F_S1G_NST_IJLi22EEEENST_IJLi23ELi24EEEENST_IJLi25EEEEEEENST_IJLi22ELi23ELi24ELi25EEEElEENSB_INS5_IJSR_SP_SP_SR_SG_SG_S2A_S2C_EEENS5_IJSU_SV_SW_SY_SX_SZ_S11_S10_EEENS5_IJS1M_SX_SY_S1N_S11_S12_NST_IJLi9ELi10EEEENST_IJLi11EEEEEEENST_IJLi8ELi9ELi10ELi11EEEElEENS5_IJNSB_INS5_IJSK_SP_SP_NSQ_INS5_IJiS2B_NS27_IiLi64EEEEEELb0EEES2W_EEENS5_IJSU_SV_SW_SX_SY_EEENS5_IJS1M_SX_SY_NST_IJLi5ELi6ELi7EEEENST_IJLi8ELi9ELi10EEEEEEENST_IJLi5ELi6ELi7ELi8ELi9ELi10EEEElEEEEES33_NS_31BlockToCTileMap_M00_N00_M01_N01ILi128ELi128ES1V_Lb0EEENS1_30ComputePtrOffsetOfStridedBatchILi1ELi1ELi1EvEELb1ELb0EEEvPKT0_S3B_T1_PT2_T3_T4_T5_iT6_T7_T8_T9_T10_T11_
	.p2align	8
	.type	_ZN2ck16tensor_operation6device12_GLOBAL__N_137kernel_grouped_conv_fwd_dl_multiple_dINS_32GridwiseGemmDlMultipleD_km_kn_mnILi256EDF16_fNS_5TupleIJDF16_EEEDF16_NS0_12element_wise11PassThroughES8_NS7_7AddReluELNS_25InMemoryDataOperationEnumE0ENS_16TensorDescriptorINS5_IJNS_5EmbedINS5_IJiiiiEEESD_Lb0EEENS_11PassThroughIiEENS_3PadIiiiLb0EEESI_SG_SG_NSC_INS5_IJiiEEESJ_Lb0EEESK_SG_NS_23Merge_v2_magic_divisionINS5_IJiiiEEEEESN_NS_8RightPadIiiLb0EEESP_NS_7UnMergeISJ_Lb0EEESG_EEENS5_IJNS_8SequenceIJLi0EEEENST_IJLi1EEEENST_IJLi2EEEENST_IJLi3EEEENST_IJLi4EEEENST_IJLi5EEEENST_IJLi6EEEENST_IJLi7EEEENST_IJLi8EEEENST_IJLi9ELi11ELi13EEEENST_IJLi10ELi12ELi14EEEENST_IJLi15EEEENST_IJLi16EEEENST_IJLi18EEEENST_IJLi17EEEEEEENS5_IJNST_IJLi1ELi2ELi3ELi4EEEESZ_S10_S11_S12_NST_IJLi9EEEENST_IJLi10ELi11EEEENST_IJLi12ELi13EEEENST_IJLi14EEEES15_S16_S18_S17_NST_IJLi19ELi20EEEENST_IJLi21EEEEEEENST_IJLi19ELi21ELi20EEEElEENSB_INS5_IJSR_SP_SP_SR_SG_EEENS5_IJSU_SV_SW_SY_SX_EEENS5_IJNST_IJLi1ELi2EEEESX_SY_NST_IJLi5ELi6EEEES11_EEENST_IJLi5ELi7ELi6EEEElEENSB_INS5_IJSK_SP_SP_EEENS5_IJSU_SV_SW_EEENS5_IJS1M_SX_SY_EEENST_IJLi3ELi4EEEElEELi128ELi128ELi16ELi2ELi4ELi4ELi1ENST_IJLi8ELi2EEEES1W_NST_IJLi8ELi1ELi1ELi2EEEENST_IJLi2ELi1ELi128ELi1EEEENST_IJLi1ELi2ELi0ELi3EEEES1Z_NST_IJLi4ELi1ELi1ELi2EEEES1Z_NST_IJLi1ELi1ELi1ELi2EEEES1X_S1Y_S1Z_S1Z_S20_S1Z_S21_NST_IJLi0ELi1ELi2ELi3ELi4ELi5EEEELi5ELi4EEEDF16_NS5_IJPKDF16_EEEDF16_S8_S8_S9_NSB_INS5_IJSE_SG_SI_SI_SG_SG_SK_SK_SG_SN_SN_SP_SP_SR_SG_SG_NSQ_INS5_IJiNS_17integral_constantIiLi128EEEEEELb0EEENSF_INS27_IiLi2EEEEEEEENS5_IJSU_SV_SW_SX_SY_SZ_S10_S11_S12_S13_S14_S15_S16_S17_S18_NST_IJLi19EEEES1G_NST_IJLi20EEEEEEENS5_IJS1A_SZ_S10_S11_S12_S1B_S1C_S1D_S1E_S15_S16_S18_S17_S1F_S1G_NST_IJLi22EEEENST_IJLi23ELi24EEEENST_IJLi25EEEEEEENST_IJLi22ELi23ELi24ELi25EEEElEENSB_INS5_IJSR_SP_SP_SR_SG_SG_S2A_S2C_EEENS5_IJSU_SV_SW_SY_SX_SZ_S11_S10_EEENS5_IJS1M_SX_SY_S1N_S11_S12_NST_IJLi9ELi10EEEENST_IJLi11EEEEEEENST_IJLi8ELi9ELi10ELi11EEEElEENS5_IJNSB_INS5_IJSK_SP_SP_NSQ_INS5_IJiS2B_NS27_IiLi64EEEEEELb0EEES2W_EEENS5_IJSU_SV_SW_SX_SY_EEENS5_IJS1M_SX_SY_NST_IJLi5ELi6ELi7EEEENST_IJLi8ELi9ELi10EEEEEEENST_IJLi5ELi6ELi7ELi8ELi9ELi10EEEElEEEEES33_NS_31BlockToCTileMap_M00_N00_M01_N01ILi128ELi128ES1V_Lb0EEENS1_30ComputePtrOffsetOfStridedBatchILi1ELi1ELi1EvEELb1ELb0EEEvPKT0_S3B_T1_PT2_T3_T4_T5_iT6_T7_T8_T9_T10_T11_,@function
_ZN2ck16tensor_operation6device12_GLOBAL__N_137kernel_grouped_conv_fwd_dl_multiple_dINS_32GridwiseGemmDlMultipleD_km_kn_mnILi256EDF16_fNS_5TupleIJDF16_EEEDF16_NS0_12element_wise11PassThroughES8_NS7_7AddReluELNS_25InMemoryDataOperationEnumE0ENS_16TensorDescriptorINS5_IJNS_5EmbedINS5_IJiiiiEEESD_Lb0EEENS_11PassThroughIiEENS_3PadIiiiLb0EEESI_SG_SG_NSC_INS5_IJiiEEESJ_Lb0EEESK_SG_NS_23Merge_v2_magic_divisionINS5_IJiiiEEEEESN_NS_8RightPadIiiLb0EEESP_NS_7UnMergeISJ_Lb0EEESG_EEENS5_IJNS_8SequenceIJLi0EEEENST_IJLi1EEEENST_IJLi2EEEENST_IJLi3EEEENST_IJLi4EEEENST_IJLi5EEEENST_IJLi6EEEENST_IJLi7EEEENST_IJLi8EEEENST_IJLi9ELi11ELi13EEEENST_IJLi10ELi12ELi14EEEENST_IJLi15EEEENST_IJLi16EEEENST_IJLi18EEEENST_IJLi17EEEEEEENS5_IJNST_IJLi1ELi2ELi3ELi4EEEESZ_S10_S11_S12_NST_IJLi9EEEENST_IJLi10ELi11EEEENST_IJLi12ELi13EEEENST_IJLi14EEEES15_S16_S18_S17_NST_IJLi19ELi20EEEENST_IJLi21EEEEEEENST_IJLi19ELi21ELi20EEEElEENSB_INS5_IJSR_SP_SP_SR_SG_EEENS5_IJSU_SV_SW_SY_SX_EEENS5_IJNST_IJLi1ELi2EEEESX_SY_NST_IJLi5ELi6EEEES11_EEENST_IJLi5ELi7ELi6EEEElEENSB_INS5_IJSK_SP_SP_EEENS5_IJSU_SV_SW_EEENS5_IJS1M_SX_SY_EEENST_IJLi3ELi4EEEElEELi128ELi128ELi16ELi2ELi4ELi4ELi1ENST_IJLi8ELi2EEEES1W_NST_IJLi8ELi1ELi1ELi2EEEENST_IJLi2ELi1ELi128ELi1EEEENST_IJLi1ELi2ELi0ELi3EEEES1Z_NST_IJLi4ELi1ELi1ELi2EEEES1Z_NST_IJLi1ELi1ELi1ELi2EEEES1X_S1Y_S1Z_S1Z_S20_S1Z_S21_NST_IJLi0ELi1ELi2ELi3ELi4ELi5EEEELi5ELi4EEEDF16_NS5_IJPKDF16_EEEDF16_S8_S8_S9_NSB_INS5_IJSE_SG_SI_SI_SG_SG_SK_SK_SG_SN_SN_SP_SP_SR_SG_SG_NSQ_INS5_IJiNS_17integral_constantIiLi128EEEEEELb0EEENSF_INS27_IiLi2EEEEEEEENS5_IJSU_SV_SW_SX_SY_SZ_S10_S11_S12_S13_S14_S15_S16_S17_S18_NST_IJLi19EEEES1G_NST_IJLi20EEEEEEENS5_IJS1A_SZ_S10_S11_S12_S1B_S1C_S1D_S1E_S15_S16_S18_S17_S1F_S1G_NST_IJLi22EEEENST_IJLi23ELi24EEEENST_IJLi25EEEEEEENST_IJLi22ELi23ELi24ELi25EEEElEENSB_INS5_IJSR_SP_SP_SR_SG_SG_S2A_S2C_EEENS5_IJSU_SV_SW_SY_SX_SZ_S11_S10_EEENS5_IJS1M_SX_SY_S1N_S11_S12_NST_IJLi9ELi10EEEENST_IJLi11EEEEEEENST_IJLi8ELi9ELi10ELi11EEEElEENS5_IJNSB_INS5_IJSK_SP_SP_NSQ_INS5_IJiS2B_NS27_IiLi64EEEEEELb0EEES2W_EEENS5_IJSU_SV_SW_SX_SY_EEENS5_IJS1M_SX_SY_NST_IJLi5ELi6ELi7EEEENST_IJLi8ELi9ELi10EEEEEEENST_IJLi5ELi6ELi7ELi8ELi9ELi10EEEElEEEEES33_NS_31BlockToCTileMap_M00_N00_M01_N01ILi128ELi128ES1V_Lb0EEENS1_30ComputePtrOffsetOfStridedBatchILi1ELi1ELi1EvEELb1ELb0EEEvPKT0_S3B_T1_PT2_T3_T4_T5_iT6_T7_T8_T9_T10_T11_: ; @_ZN2ck16tensor_operation6device12_GLOBAL__N_137kernel_grouped_conv_fwd_dl_multiple_dINS_32GridwiseGemmDlMultipleD_km_kn_mnILi256EDF16_fNS_5TupleIJDF16_EEEDF16_NS0_12element_wise11PassThroughES8_NS7_7AddReluELNS_25InMemoryDataOperationEnumE0ENS_16TensorDescriptorINS5_IJNS_5EmbedINS5_IJiiiiEEESD_Lb0EEENS_11PassThroughIiEENS_3PadIiiiLb0EEESI_SG_SG_NSC_INS5_IJiiEEESJ_Lb0EEESK_SG_NS_23Merge_v2_magic_divisionINS5_IJiiiEEEEESN_NS_8RightPadIiiLb0EEESP_NS_7UnMergeISJ_Lb0EEESG_EEENS5_IJNS_8SequenceIJLi0EEEENST_IJLi1EEEENST_IJLi2EEEENST_IJLi3EEEENST_IJLi4EEEENST_IJLi5EEEENST_IJLi6EEEENST_IJLi7EEEENST_IJLi8EEEENST_IJLi9ELi11ELi13EEEENST_IJLi10ELi12ELi14EEEENST_IJLi15EEEENST_IJLi16EEEENST_IJLi18EEEENST_IJLi17EEEEEEENS5_IJNST_IJLi1ELi2ELi3ELi4EEEESZ_S10_S11_S12_NST_IJLi9EEEENST_IJLi10ELi11EEEENST_IJLi12ELi13EEEENST_IJLi14EEEES15_S16_S18_S17_NST_IJLi19ELi20EEEENST_IJLi21EEEEEEENST_IJLi19ELi21ELi20EEEElEENSB_INS5_IJSR_SP_SP_SR_SG_EEENS5_IJSU_SV_SW_SY_SX_EEENS5_IJNST_IJLi1ELi2EEEESX_SY_NST_IJLi5ELi6EEEES11_EEENST_IJLi5ELi7ELi6EEEElEENSB_INS5_IJSK_SP_SP_EEENS5_IJSU_SV_SW_EEENS5_IJS1M_SX_SY_EEENST_IJLi3ELi4EEEElEELi128ELi128ELi16ELi2ELi4ELi4ELi1ENST_IJLi8ELi2EEEES1W_NST_IJLi8ELi1ELi1ELi2EEEENST_IJLi2ELi1ELi128ELi1EEEENST_IJLi1ELi2ELi0ELi3EEEES1Z_NST_IJLi4ELi1ELi1ELi2EEEES1Z_NST_IJLi1ELi1ELi1ELi2EEEES1X_S1Y_S1Z_S1Z_S20_S1Z_S21_NST_IJLi0ELi1ELi2ELi3ELi4ELi5EEEELi5ELi4EEEDF16_NS5_IJPKDF16_EEEDF16_S8_S8_S9_NSB_INS5_IJSE_SG_SI_SI_SG_SG_SK_SK_SG_SN_SN_SP_SP_SR_SG_SG_NSQ_INS5_IJiNS_17integral_constantIiLi128EEEEEELb0EEENSF_INS27_IiLi2EEEEEEEENS5_IJSU_SV_SW_SX_SY_SZ_S10_S11_S12_S13_S14_S15_S16_S17_S18_NST_IJLi19EEEES1G_NST_IJLi20EEEEEEENS5_IJS1A_SZ_S10_S11_S12_S1B_S1C_S1D_S1E_S15_S16_S18_S17_S1F_S1G_NST_IJLi22EEEENST_IJLi23ELi24EEEENST_IJLi25EEEEEEENST_IJLi22ELi23ELi24ELi25EEEElEENSB_INS5_IJSR_SP_SP_SR_SG_SG_S2A_S2C_EEENS5_IJSU_SV_SW_SY_SX_SZ_S11_S10_EEENS5_IJS1M_SX_SY_S1N_S11_S12_NST_IJLi9ELi10EEEENST_IJLi11EEEEEEENST_IJLi8ELi9ELi10ELi11EEEElEENS5_IJNSB_INS5_IJSK_SP_SP_NSQ_INS5_IJiS2B_NS27_IiLi64EEEEEELb0EEES2W_EEENS5_IJSU_SV_SW_SX_SY_EEENS5_IJS1M_SX_SY_NST_IJLi5ELi6ELi7EEEENST_IJLi8ELi9ELi10EEEEEEENST_IJLi5ELi6ELi7ELi8ELi9ELi10EEEElEEEEES33_NS_31BlockToCTileMap_M00_N00_M01_N01ILi128ELi128ES1V_Lb0EEENS1_30ComputePtrOffsetOfStridedBatchILi1ELi1ELi1EvEELb1ELb0EEEvPKT0_S3B_T1_PT2_T3_T4_T5_iT6_T7_T8_T9_T10_T11_
; %bb.0:
	s_clause 0x6
	s_load_dword s0, s[4:5], 0x24
	s_load_dwordx4 s[20:23], s[4:5], 0x38
	s_load_dword s2, s[4:5], 0x2c8
	s_load_dwordx8 s[12:19], s[4:5], 0x2a0
	s_load_dwordx2 s[46:47], s[4:5], 0xc8
	s_load_dword s57, s[4:5], 0x254
	s_load_dwordx2 s[34:35], s[4:5], 0xa0
	v_lshrrev_b32_e32 v7, 1, v0
	v_mov_b32_e32 v46, 0
	v_mov_b32_e32 v26, 0
	;; [unrolled: 1-line block ×12, first 2 shown]
	s_waitcnt lgkmcnt(0)
	s_abs_i32 s1, s0
	v_mov_b32_e32 v56, 0
	v_cvt_f32_u32_e32 v1, s1
	s_sub_i32 s7, 0, s1
	s_abs_i32 s8, s2
	s_xor_b32 s0, s2, s0
	v_mov_b32_e32 v22, 0
	v_rcp_iflag_f32_e32 v1, v1
	s_ashr_i32 s0, s0, 31
	v_mov_b32_e32 v23, 0
	v_mov_b32_e32 v57, 0
	;; [unrolled: 1-line block ×8, first 2 shown]
	v_mul_f32_e32 v1, 0x4f7ffffe, v1
	v_mov_b32_e32 v17, 0
	v_mov_b32_e32 v62, 0
	;; [unrolled: 1-line block ×4, first 2 shown]
	v_cvt_u32_f32_e32 v1, v1
	v_mov_b32_e32 v34, 0
	v_mov_b32_e32 v64, 0
	;; [unrolled: 1-line block ×4, first 2 shown]
	v_readfirstlane_b32 s3, v1
	v_mov_b32_e32 v33, 0
	v_mov_b32_e32 v66, 0
	;; [unrolled: 1-line block ×4, first 2 shown]
	s_mul_i32 s7, s7, s3
	v_mov_b32_e32 v36, 0
	s_mul_hi_u32 s7, s3, s7
	v_mov_b32_e32 v68, 0
	s_add_i32 s3, s3, s7
	v_mov_b32_e32 v69, 0
	s_mul_hi_u32 s3, s8, s3
	v_mov_b32_e32 v38, 0
	s_mul_i32 s2, s3, s1
	s_add_i32 s7, s3, 1
	s_sub_i32 s2, s8, s2
	v_mov_b32_e32 v39, 0
	s_sub_i32 s8, s2, s1
	s_cmp_ge_u32 s2, s1
	v_mov_b32_e32 v70, 0
	s_cselect_b32 s3, s7, s3
	s_cselect_b32 s2, s8, s2
	s_add_i32 s7, s3, 1
	s_cmp_ge_u32 s2, s1
	v_mov_b32_e32 v71, 0
	s_cselect_b32 s1, s7, s3
	s_abs_i32 s11, s6
	s_xor_b32 s1, s1, s0
	v_mov_b32_e32 v43, 0
	s_sub_i32 s7, s1, s0
	s_clause 0x1
	s_load_dwordx4 s[0:3], s[4:5], 0x0
	s_load_dwordx2 s[44:45], s[4:5], 0x18
	s_abs_i32 s8, s7
	s_xor_b32 s7, s6, s7
	v_cvt_f32_u32_e32 v1, s8
	s_sub_i32 s10, 0, s8
	s_ashr_i32 s24, s7, 31
	v_mov_b32_e32 v42, 0
	v_mov_b32_e32 v72, 0
	v_rcp_iflag_f32_e32 v1, v1
	v_mov_b32_e32 v73, 0
	v_mov_b32_e32 v40, 0
	;; [unrolled: 1-line block ×9, first 2 shown]
	v_mul_f32_e32 v1, 0x4f7ffffe, v1
	v_mov_b32_e32 v51, 0
	v_mov_b32_e32 v52, 0
	;; [unrolled: 1-line block ×4, first 2 shown]
	v_cvt_u32_f32_e32 v1, v1
	v_mov_b32_e32 v59, 0
	v_mov_b32_e32 v31, 0
	;; [unrolled: 1-line block ×4, first 2 shown]
	v_readfirstlane_b32 s9, v1
	v_lshlrev_b32_e32 v1, 3, v0
	v_mov_b32_e32 v53, 0
	v_mov_b32_e32 v28, 0
	;; [unrolled: 1-line block ×3, first 2 shown]
	s_mul_i32 s10, s10, s9
	v_and_b32_e32 v6, 8, v1
	s_mul_hi_u32 s10, s9, s10
	s_add_i32 s9, s9, s10
	v_or_b32_e32 v1, 4, v6
	s_mul_hi_u32 s9, s11, s9
	s_mul_i32 s10, s9, s8
	s_sub_i32 s7, s11, s10
	s_add_i32 s10, s9, 1
	s_sub_i32 s11, s7, s8
	s_cmp_ge_u32 s7, s8
	s_cselect_b32 s9, s10, s9
	s_cselect_b32 s7, s11, s7
	s_add_i32 s10, s9, 1
	s_cmp_ge_u32 s7, s8
	s_clause 0x5
	s_load_dword s66, s[4:5], 0x100
	s_load_dword s63, s[4:5], 0x10c
	;; [unrolled: 1-line block ×6, first 2 shown]
	s_cselect_b32 s8, s10, s9
	s_xor_b32 s27, s8, s24
	s_clause 0x1
	s_load_dwordx4 s[36:39], s[4:5], 0x274
	s_load_dwordx4 s[8:11], s[4:5], 0x288
	s_sub_i32 s58, s27, s24
	s_ashr_i32 s60, s58, 31
	s_mul_hi_u32 s24, s12, s58
	s_mul_i32 s30, s15, s58
	s_mul_i32 s15, s12, s60
	;; [unrolled: 1-line block ×3, first 2 shown]
	s_add_i32 s15, s24, s15
	s_mul_i32 s28, s12, s58
	s_mul_hi_u32 s27, s14, s58
	s_mul_i32 s12, s14, s58
	s_mul_i32 s14, s14, s60
	s_add_i32 s29, s15, s13
	s_add_i32 s13, s27, s14
	s_lshl_b64 s[14:15], s[28:29], 1
	s_add_i32 s13, s13, s30
	s_waitcnt lgkmcnt(0)
	s_add_u32 s24, s0, s14
	s_addc_u32 s42, s1, s15
	s_lshl_b64 s[0:1], s[12:13], 1
	s_mul_hi_u32 s12, s39, s6
	s_add_u32 s28, s2, s0
	s_addc_u32 s29, s3, s1
	s_add_i32 s12, s6, s12
	s_clause 0x1
	s_load_dword s13, s[4:5], 0x244
	s_load_dwordx4 s[0:3], s[4:5], 0x260
	s_lshr_b32 s43, s12, s11
	v_mul_lo_u32 v2, s66, v1
	s_mul_hi_u32 s11, s43, s38
	s_clause 0x2
	s_load_dwordx2 s[30:31], s[4:5], 0xac
	s_load_dwordx2 s[48:49], s[4:5], 0xbc
	;; [unrolled: 1-line block ×3, first 2 shown]
	s_add_i32 s11, s43, s11
	v_mul_lo_u32 v12, s66, v6
	s_lshr_b32 s38, s11, s10
	s_mov_b32 s27, 0x31014000
	s_mul_hi_u32 s10, s38, s37
	v_mul_hi_u32 v3, v2, s47
	s_add_i32 s10, s38, s10
	s_and_b32 s29, s29, 0xffff
	s_lshr_b32 s64, s10, s9
	v_mul_hi_u32 v1, v12, s47
	s_mul_hi_u32 s9, s64, s36
	s_clause 0x2
	s_load_dwordx2 s[52:53], s[4:5], 0x74
	s_load_dwordx2 s[54:55], s[4:5], 0x84
	;; [unrolled: 1-line block ×3, first 2 shown]
	s_add_i32 s9, s64, s9
	v_add_nc_u32_e32 v3, v2, v3
	s_lshr_b32 s8, s9, s8
	s_mov_b32 s39, s27
	s_waitcnt lgkmcnt(0)
	s_mul_i32 s8, s8, s0
	s_mul_i32 s0, s38, s2
	s_sub_i32 s2, s64, s8
	s_sub_i32 s56, s43, s0
	s_mul_i32 s2, s2, s13
	v_add_nc_u32_e32 v1, v12, v1
	s_add_i32 s56, s56, s2
	v_lshrrev_b32_e32 v3, s51, v3
	v_lshl_or_b32 v88, s56, 7, v7
	s_clause 0x2
	s_load_dword s61, s[4:5], 0x50
	s_load_dwordx4 s[8:11], s[4:5], 0x4c
	s_load_dword s0, s[4:5], 0x160
	v_lshrrev_b32_e32 v1, s51, v1
	s_clause 0x1
	s_load_dword s62, s[4:5], 0x5c
	s_load_dwordx4 s[12:15], s[4:5], 0x58
	v_mul_hi_u32 v5, v3, s46
	v_mul_hi_u32 v8, v88, s35
	v_mul_lo_u32 v10, v3, s49
	v_mul_hi_u32 v4, v1, s46
	v_mul_lo_u32 v9, v1, s49
	s_mul_i32 s64, s64, s1
	s_mul_i32 s43, s43, s3
	s_sub_i32 s1, s38, s64
	v_add_nc_u32_e32 v5, v3, v5
	v_add_nc_u32_e32 v8, v88, v8
	v_sub_nc_u32_e32 v90, v2, v10
	v_add_nc_u32_e32 v4, v1, v4
	s_sub_i32 s3, s6, s43
	v_lshrrev_b32_e32 v89, s50, v5
	v_lshrrev_b32_e32 v5, s31, v8
	v_sub_nc_u32_e32 v8, v12, v9
	v_lshrrev_b32_e32 v4, s50, v4
	s_mul_i32 s1, s1, s57
	v_mul_lo_u32 v10, v89, s48
	v_mul_hi_u32 v11, v5, s34
	v_sub_nc_u32_e32 v13, v90, v8
	v_mul_lo_u32 v9, v4, s48
	s_add_i32 s57, s3, s1
	s_clause 0x1
	s_load_dword s2, s[4:5], 0x188
	s_load_dwordx2 s[40:41], s[4:5], 0x198
	s_waitcnt lgkmcnt(0)
	s_clause 0x1
	s_load_dword s15, s[4:5], 0x1a4
	s_load_dword s33, s[4:5], 0x1b0
	v_lshl_or_b32 v114, s57, 7, v7
	v_mul_lo_u32 v111, s0, v6
	v_sub_nc_u32_e32 v91, v3, v10
	v_add_nc_u32_e32 v10, v5, v11
	v_sub_nc_u32_e32 v11, v89, v4
	v_sub_nc_u32_e32 v9, v1, v9
	v_mul_lo_u32 v1, v4, s52
	v_mul_lo_u32 v3, v13, s23
	v_lshrrev_b32_e32 v10, s30, v10
	v_mul_lo_u32 v112, v11, s52
	v_sub_nc_u32_e32 v13, v91, v9
	v_mul_lo_u32 v4, v9, s54
	v_mul_lo_u32 v9, v5, s37
	;; [unrolled: 1-line block ×5, first 2 shown]
	s_lshl_b32 s6, s0, 2
	s_lshl_b32 s38, s2, 1
	s_mov_b32 s36, s28
	s_mov_b32 s37, s29
	v_sub_nc_u32_e32 v9, v88, v9
	v_sub_nc_u32_e32 v5, v5, v11
	s_sub_i32 s14, s12, s14
	s_mul_i32 s11, s66, 12
	v_cmp_gt_i32_e32 vcc_lo, s7, v114
	v_lshlrev_b32_e32 v7, 2, v7
	v_mad_u64_u32 v[92:93], null, v9, s55, v[4:5]
	v_mad_u64_u32 v[109:110], null, v5, s53, v[1:2]
	v_mul_lo_u32 v1, v8, s23
	v_mad_u64_u32 v[3:4], null, v112, s21, v[3:4]
	v_mul_lo_u32 v110, v114, s26
	v_subrev_nc_u32_e32 v4, s62, v92
	v_mul_lo_u32 v8, v113, s22
	v_subrev_nc_u32_e32 v9, s61, v109
	s_lshl_b32 s26, s25, 1
	s_and_b32 s25, s42, 0xffff
	v_mad_u64_u32 v[4:5], null, v4, s22, v[1:2]
	v_mul_lo_u32 v1, v9, s21
	v_add_nc_u32_e32 v11, v110, v111
	v_cmp_gt_i32_e64 s7, s14, v92
	s_mov_b32 s30, s38
	s_lshl_b32 s64, s0, 5
	s_lshl_b32 s65, s0, 6
	v_lshlrev_b32_e32 v5, 1, v11
	v_add_lshl_u32 v9, v11, s6, 1
	v_add3_u32 v4, v4, v10, v1
	v_or_b32_e32 v11, 36, v6
	v_or_b32_e32 v10, 32, v6
	s_clause 0x1
	buffer_load_dwordx4 v[93:96], v5, s[36:39], 0 offen
	buffer_load_dwordx4 v[97:100], v9, s[36:39], 0 offen
	v_add3_u32 v1, v3, v8, v4
	v_lshlrev_b32_e32 v3, 1, v4
	v_or_b32_e32 v9, 20, v6
	v_cmp_gt_i32_e64 s3, s59, v111
	s_mov_b32 s53, 0
	v_lshlrev_b32_e32 v4, 1, v1
	s_clause 0x1
	buffer_load_dwordx4 v[101:104], v3, s[24:27], 0 offen
	buffer_load_dwordx4 v[105:108], v4, s[24:27], 0 offen
	v_lshrrev_b32_e32 v3, 5, v0
	v_lshlrev_b32_e32 v4, 1, v0
	s_clause 0x2
	s_load_dword s9, s[4:5], 0xe4
	s_load_dword s39, s[4:5], 0xf0
	s_load_dwordx2 s[36:37], s[4:5], 0x228
	v_lshlrev_b32_e32 v0, 2, v0
	s_clause 0x3
	s_load_dwordx2 s[42:43], s[4:5], 0x1d8
	s_load_dwordx2 s[34:35], s[4:5], 0x1e8
	s_load_dword s13, s[4:5], 0x1f4
	s_load_dword s20, s[4:5], 0x200
	v_lshlrev_b32_e32 v5, 6, v3
	v_and_b32_e32 v8, 0x1f8, v4
	s_waitcnt lgkmcnt(0)
	s_mov_b32 s43, s47
	s_sub_i32 s47, s8, s10
	s_lshl_b32 s8, s66, 2
	v_lshlrev_b32_e32 v3, 3, v3
	v_sub_nc_u32_e32 v5, v8, v5
	v_or_b32_e32 v8, 16, v6
	s_add_i32 s38, s8, s11
	v_cmp_le_i32_e64 s8, s62, v92
	v_and_or_b32 v83, v4, 4, v3
	v_and_or_b32 v82, v0, 4, v5
	v_add_nc_u32_e32 v0, s6, v111
	v_lshl_or_b32 v3, v6, 9, v7
	v_mul_lo_u32 v4, s0, v11
	v_mul_lo_u32 v5, s0, v10
	v_cmp_gt_i32_e64 s1, s39, v12
	v_cmp_gt_i32_e64 s6, s59, v0
	v_add_nc_u32_e32 v0, v92, v113
	v_add_nc_u32_e32 v92, v109, v112
	v_cmp_gt_i32_e64 s2, s39, v2
	s_and_b32 s68, s7, s1
	v_mul_lo_u32 v6, s0, v9
	v_cmp_gt_i32_e64 s7, s14, v0
	v_mul_lo_u32 v7, s0, v8
	v_cmp_gt_i32_e64 s0, s9, v88
	v_cmp_le_i32_e64 s1, s62, v0
	v_cmp_le_i32_e64 s9, s61, v109
	v_cmp_gt_i32_e64 s10, s47, v109
	v_cmp_le_i32_e64 s11, s61, v92
	v_cmp_gt_i32_e64 s12, s47, v92
	s_and_b32 s2, s7, s2
	v_mul_lo_u32 v8, s66, v8
	v_mul_lo_u32 v9, s66, v9
	;; [unrolled: 1-line block ×4, first 2 shown]
	s_and_b32 s7, s68, s8
	s_and_b32 s1, s2, s1
	;; [unrolled: 1-line block ×6, first 2 shown]
	s_and_b32 s1, s3, vcc_lo
	v_lshlrev_b32_e32 v80, 2, v83
	v_lshlrev_b32_e32 v81, 2, v82
	;; [unrolled: 1-line block ×6, first 2 shown]
	v_mov_b32_e32 v84, v11
	v_mov_b32_e32 v85, v10
	;; [unrolled: 1-line block ×4, first 2 shown]
	v_lshlrev_b32_e32 v88, 1, v110
	s_mov_b32 s37, 0
	s_mov_b32 s55, 0
	;; [unrolled: 1-line block ×3, first 2 shown]
	s_sub_i32 s63, s63, 32
	s_lshl_b32 s66, s66, 5
	s_sub_i32 s67, 0, s49
	s_waitcnt vmcnt(3)
	v_cndmask_b32_e64 v94, 0, v94, s1
	v_cndmask_b32_e64 v93, 0, v93, s1
	;; [unrolled: 1-line block ×4, first 2 shown]
	s_and_b32 s1, s6, vcc_lo
	ds_write2st64_b32 v3, v93, v94 offset0:64 offset1:66
	ds_write2st64_b32 v3, v95, v96 offset0:68 offset1:70
	s_waitcnt vmcnt(2)
	v_cndmask_b32_e64 v100, 0, v100, s1
	v_cndmask_b32_e64 v99, 0, v99, s1
	;; [unrolled: 1-line block ×4, first 2 shown]
	s_and_b32 s1, s0, s2
	s_waitcnt vmcnt(1)
	v_cndmask_b32_e64 v93, 0, v104, s1
	v_cndmask_b32_e64 v94, 0, v103, s1
	;; [unrolled: 1-line block ×4, first 2 shown]
	s_and_b32 s1, s0, s7
	s_waitcnt vmcnt(0)
	v_cndmask_b32_e64 v102, 0, v106, s1
	v_cndmask_b32_e64 v103, 0, v105, s1
	;; [unrolled: 1-line block ×4, first 2 shown]
	ds_write2st64_b32 v3, v97, v98 offset0:72 offset1:74
	ds_write2st64_b32 v3, v96, v95 offset1:2
	ds_write2st64_b32 v3, v94, v93 offset0:4 offset1:6
	ds_write2st64_b32 v3, v103, v102 offset0:8 offset1:10
	;; [unrolled: 1-line block ×4, first 2 shown]
.LBB6_1:                                ; =>This Inner Loop Header: Depth=1
	v_mul_hi_u32 v95, s43, v87
	v_add_nc_u32_e32 v96, s37, v8
	v_mul_hi_u32 v100, s43, v86
	v_add_nc_u32_e32 v99, s37, v9
	;; [unrolled: 2-line block ×3, first 2 shown]
	v_cmp_gt_i32_e64 s1, s39, v96
	v_mul_hi_u32 v94, s43, v85
	v_add_nc_u32_e32 v95, v96, v95
	v_add_nc_u32_e32 v87, s66, v87
	;; [unrolled: 1-line block ×5, first 2 shown]
	v_lshrrev_b32_e32 v95, s51, v95
	s_add_i32 s55, s55, 32
	v_mul_lo_u32 v97, s67, v95
	v_add_nc_u32_e32 v101, v96, v97
	v_sub_nc_u32_e32 v90, v97, v90
	v_mul_hi_u32 v97, v95, s46
	v_add_nc_u32_e32 v90, v96, v90
	v_add_nc_u32_e32 v97, v95, v97
	v_lshrrev_b32_e32 v102, s50, v97
	v_mul_lo_u32 v97, v102, s48
	v_sub_nc_u32_e32 v89, v102, v89
	v_sub_nc_u32_e32 v103, v95, v97
	;; [unrolled: 1-line block ×3, first 2 shown]
	v_mul_lo_u32 v91, v91, s54
	v_add_nc_u32_e32 v104, v91, v0
	v_mul_lo_u32 v0, v89, s52
	v_mul_lo_u32 v91, v91, s22
	v_cmp_gt_i32_e64 s3, s14, v104
	v_cmp_le_i32_e64 s2, s62, v104
	v_add_nc_u32_e32 v105, v0, v92
	v_mul_lo_u32 v89, v0, s21
	v_mad_u64_u32 v[0:1], null, v90, s23, v[1:2]
	s_and_b32 s1, s3, s1
	v_add3_u32 v2, s38, s38, v2
	s_and_b32 s3, s1, s2
	v_cmp_le_i32_e64 s1, s61, v105
	v_cmp_gt_i32_e64 s2, s47, v105
	v_add3_u32 v106, v0, v89, v91
	s_and_b32 s1, s1, s2
	v_lshlrev_b32_e32 v0, 1, v106
	s_and_b32 s1, s1, s3
	s_and_b32 s1, s0, s1
	buffer_load_dwordx4 v[89:92], v0, s[24:27], 0 offen
	v_add_nc_u32_e32 v0, v99, v100
	s_waitcnt vmcnt(0)
	v_cndmask_b32_e64 v98, 0, v89, s1
	v_lshrrev_b32_e32 v89, s51, v0
	v_cndmask_b32_e64 v97, 0, v90, s1
	v_cndmask_b32_e64 v95, 0, v92, s1
	;; [unrolled: 1-line block ×3, first 2 shown]
	v_cmp_gt_i32_e64 s1, s39, v99
	v_mad_u64_u32 v[0:1], null, s67, v89, v[99:100]
	v_mul_hi_u32 v1, v89, s46
	v_sub_nc_u32_e32 v92, v0, v101
	v_add_nc_u32_e32 v1, v89, v1
	v_mul_lo_u32 v92, v92, s23
	v_lshrrev_b32_e32 v1, s50, v1
	v_mul_lo_u32 v90, v1, s48
	v_sub_nc_u32_e32 v91, v1, v102
	v_mul_lo_u32 v101, v91, s52
	v_sub_nc_u32_e32 v89, v89, v90
	v_sub_nc_u32_e32 v90, v89, v103
	v_add_nc_u32_e32 v91, v101, v105
	v_mul_lo_u32 v100, v90, s54
	v_add_nc_u32_e32 v90, v100, v104
	v_mul_lo_u32 v102, v100, s22
	v_mad_u64_u32 v[100:101], null, v101, s21, v[92:93]
	v_cmp_gt_i32_e64 s3, s14, v90
	v_cmp_le_i32_e64 s2, s62, v90
	v_add3_u32 v92, v100, v106, v102
	s_and_b32 s1, s3, s1
	s_and_b32 s3, s1, s2
	v_cmp_le_i32_e64 s1, s61, v91
	v_lshlrev_b32_e32 v100, 1, v92
	v_cmp_gt_i32_e64 s2, s47, v91
	buffer_load_dwordx4 v[102:105], v100, s[24:27], 0 offen
	s_and_b32 s1, s1, s2
	s_and_b32 s1, s1, s3
	s_and_b32 s1, s0, s1
	s_waitcnt vmcnt(0)
	v_cndmask_b32_e64 v101, 0, v103, s1
	v_add_nc_u32_e32 v103, v15, v88
	v_cndmask_b32_e64 v99, 0, v105, s1
	v_cndmask_b32_e64 v100, 0, v104, s1
	;; [unrolled: 1-line block ×3, first 2 shown]
	v_cmp_gt_i32_e64 s1, s59, v107
	buffer_load_dwordx4 v[106:109], v103, s[28:31], 0 offen
	s_and_b32 s1, vcc_lo, s1
	s_waitcnt vmcnt(0)
	v_cndmask_b32_e64 v104, 0, v108, s1
	v_add_nc_u32_e32 v108, v14, v88
	v_cndmask_b32_e64 v105, 0, v107, s1
	v_add_nc_u32_e32 v107, s53, v6
	v_cndmask_b32_e64 v103, 0, v109, s1
	v_cndmask_b32_e64 v106, 0, v106, s1
	buffer_load_dwordx4 v[110:113], v108, s[28:31], 0 offen
	s_waitcnt lgkmcnt(0)
	v_cmp_gt_i32_e64 s1, s59, v107
	s_barrier
	s_and_b32 s1, vcc_lo, s1
	s_waitcnt vmcnt(0)
	v_cndmask_b32_e64 v107, 0, v113, s1
	v_cndmask_b32_e64 v108, 0, v112, s1
	;; [unrolled: 1-line block ×3, first 2 shown]
	ds_read_b128 v[111:114], v80
	ds_read_b128 v[115:118], v81 offset:16384
	ds_read_b128 v[119:122], v81 offset:16640
	;; [unrolled: 1-line block ×3, first 2 shown]
	v_cndmask_b32_e64 v110, 0, v110, s1
	s_waitcnt lgkmcnt(2)
	v_dot2c_f32_f16 v79, v111, v115
	v_dot2c_f32_f16 v78, v111, v116
	v_dot2c_f32_f16 v52, v111, v117
	v_dot2c_f32_f16 v51, v111, v118
	v_dot2c_f32_f16 v75, v112, v115
	v_dot2c_f32_f16 v74, v112, v116
	v_dot2c_f32_f16 v41, v112, v117
	v_dot2c_f32_f16 v40, v112, v118
	v_dot2c_f32_f16 v71, v113, v115
	v_dot2c_f32_f16 v70, v113, v116
	v_dot2c_f32_f16 v39, v113, v117
	v_dot2c_f32_f16 v38, v113, v118
	v_dot2c_f32_f16 v67, v114, v115
	v_dot2c_f32_f16 v66, v114, v116
	v_dot2c_f32_f16 v33, v114, v117
	v_dot2c_f32_f16 v32, v114, v118
	s_waitcnt lgkmcnt(1)
	v_dot2c_f32_f16 v77, v111, v119
	v_dot2c_f32_f16 v76, v111, v120
	;; [unrolled: 1-line block ×16, first 2 shown]
	ds_read_b128 v[111:114], v80 offset:512
	s_waitcnt lgkmcnt(1)
	v_dot2c_f32_f16 v63, v123, v115
	v_dot2c_f32_f16 v62, v123, v116
	;; [unrolled: 1-line block ×16, first 2 shown]
	ds_read_b128 v[115:118], v81 offset:16896
	v_dot2c_f32_f16 v61, v123, v119
	v_dot2c_f32_f16 v60, v123, v120
	;; [unrolled: 1-line block ×16, first 2 shown]
	ds_read_b128 v[119:122], v81 offset:17152
	ds_read_b128 v[123:126], v80 offset:768
	s_waitcnt lgkmcnt(2)
	v_dot2c_f32_f16 v79, v111, v115
	v_dot2c_f32_f16 v78, v111, v116
	;; [unrolled: 1-line block ×16, first 2 shown]
	s_waitcnt lgkmcnt(1)
	v_dot2c_f32_f16 v77, v111, v119
	v_dot2c_f32_f16 v76, v111, v120
	;; [unrolled: 1-line block ×16, first 2 shown]
	ds_read_b128 v[111:114], v80 offset:1024
	s_waitcnt lgkmcnt(1)
	v_dot2c_f32_f16 v63, v123, v115
	v_dot2c_f32_f16 v62, v123, v116
	;; [unrolled: 1-line block ×16, first 2 shown]
	ds_read_b128 v[115:118], v81 offset:17408
	v_dot2c_f32_f16 v61, v123, v119
	v_dot2c_f32_f16 v60, v123, v120
	;; [unrolled: 1-line block ×16, first 2 shown]
	ds_read_b128 v[119:122], v81 offset:17664
	ds_read_b128 v[123:126], v80 offset:1280
	s_waitcnt lgkmcnt(2)
	v_dot2c_f32_f16 v79, v111, v115
	v_dot2c_f32_f16 v78, v111, v116
	;; [unrolled: 1-line block ×16, first 2 shown]
	s_waitcnt lgkmcnt(1)
	v_dot2c_f32_f16 v77, v111, v119
	v_dot2c_f32_f16 v76, v111, v120
	;; [unrolled: 1-line block ×16, first 2 shown]
	ds_read_b128 v[111:114], v80 offset:1536
	s_waitcnt lgkmcnt(1)
	v_dot2c_f32_f16 v63, v123, v115
	v_dot2c_f32_f16 v62, v123, v116
	;; [unrolled: 1-line block ×16, first 2 shown]
	ds_read_b128 v[115:118], v81 offset:17920
	v_dot2c_f32_f16 v61, v123, v119
	v_dot2c_f32_f16 v60, v123, v120
	;; [unrolled: 1-line block ×16, first 2 shown]
	ds_read_b128 v[119:122], v81 offset:18176
	ds_read_b128 v[123:126], v80 offset:1792
	s_waitcnt lgkmcnt(2)
	v_dot2c_f32_f16 v79, v111, v115
	v_dot2c_f32_f16 v78, v111, v116
	;; [unrolled: 1-line block ×16, first 2 shown]
	s_waitcnt lgkmcnt(1)
	v_dot2c_f32_f16 v77, v111, v119
	v_dot2c_f32_f16 v76, v111, v120
	;; [unrolled: 1-line block ×16, first 2 shown]
	ds_read_b128 v[111:114], v80 offset:2048
	s_waitcnt lgkmcnt(1)
	v_dot2c_f32_f16 v63, v123, v115
	v_dot2c_f32_f16 v62, v123, v116
	;; [unrolled: 1-line block ×16, first 2 shown]
	ds_read_b128 v[115:118], v81 offset:18432
	v_dot2c_f32_f16 v61, v123, v119
	v_dot2c_f32_f16 v60, v123, v120
	;; [unrolled: 1-line block ×16, first 2 shown]
	ds_read_b128 v[119:122], v81 offset:18688
	ds_read_b128 v[123:126], v80 offset:2304
	s_waitcnt lgkmcnt(2)
	v_dot2c_f32_f16 v79, v111, v115
	v_dot2c_f32_f16 v78, v111, v116
	;; [unrolled: 1-line block ×16, first 2 shown]
	s_waitcnt lgkmcnt(1)
	v_dot2c_f32_f16 v77, v111, v119
	v_dot2c_f32_f16 v76, v111, v120
	;; [unrolled: 1-line block ×16, first 2 shown]
	ds_read_b128 v[111:114], v80 offset:2560
	s_waitcnt lgkmcnt(1)
	v_dot2c_f32_f16 v63, v123, v115
	v_dot2c_f32_f16 v62, v123, v116
	;; [unrolled: 1-line block ×16, first 2 shown]
	ds_read_b128 v[115:118], v81 offset:18944
	v_dot2c_f32_f16 v61, v123, v119
	v_dot2c_f32_f16 v60, v123, v120
	v_dot2c_f32_f16 v19, v123, v121
	v_dot2c_f32_f16 v18, v123, v122
	v_dot2c_f32_f16 v56, v124, v119
	v_dot2c_f32_f16 v54, v124, v120
	v_dot2c_f32_f16 v21, v124, v121
	v_dot2c_f32_f16 v20, v124, v122
	v_dot2c_f32_f16 v48, v125, v119
	v_dot2c_f32_f16 v47, v125, v120
	v_dot2c_f32_f16 v27, v125, v121
	v_dot2c_f32_f16 v26, v125, v122
	v_dot2c_f32_f16 v55, v126, v119
	v_dot2c_f32_f16 v53, v126, v120
	v_dot2c_f32_f16 v28, v126, v121
	v_dot2c_f32_f16 v29, v126, v122
	ds_read_b128 v[119:122], v81 offset:19200
	ds_read_b128 v[123:126], v80 offset:2816
	s_waitcnt lgkmcnt(2)
	v_dot2c_f32_f16 v79, v111, v115
	v_dot2c_f32_f16 v78, v111, v116
	;; [unrolled: 1-line block ×16, first 2 shown]
	s_waitcnt lgkmcnt(1)
	v_dot2c_f32_f16 v77, v111, v119
	v_dot2c_f32_f16 v76, v111, v120
	;; [unrolled: 1-line block ×16, first 2 shown]
	ds_read_b128 v[111:114], v80 offset:3072
	s_waitcnt lgkmcnt(1)
	v_dot2c_f32_f16 v63, v123, v115
	v_dot2c_f32_f16 v62, v123, v116
	;; [unrolled: 1-line block ×16, first 2 shown]
	ds_read_b128 v[115:118], v81 offset:19456
	v_dot2c_f32_f16 v61, v123, v119
	v_dot2c_f32_f16 v60, v123, v120
	;; [unrolled: 1-line block ×16, first 2 shown]
	ds_read_b128 v[119:122], v81 offset:19712
	ds_read_b128 v[123:126], v80 offset:3328
	s_waitcnt lgkmcnt(2)
	v_dot2c_f32_f16 v79, v111, v115
	v_dot2c_f32_f16 v78, v111, v116
	v_dot2c_f32_f16 v52, v111, v117
	v_dot2c_f32_f16 v51, v111, v118
	v_dot2c_f32_f16 v75, v112, v115
	v_dot2c_f32_f16 v74, v112, v116
	v_dot2c_f32_f16 v41, v112, v117
	v_dot2c_f32_f16 v40, v112, v118
	v_dot2c_f32_f16 v71, v113, v115
	v_dot2c_f32_f16 v70, v113, v116
	v_dot2c_f32_f16 v39, v113, v117
	v_dot2c_f32_f16 v38, v113, v118
	v_dot2c_f32_f16 v67, v114, v115
	v_dot2c_f32_f16 v66, v114, v116
	v_dot2c_f32_f16 v33, v114, v117
	v_dot2c_f32_f16 v32, v114, v118
	s_waitcnt lgkmcnt(1)
	v_dot2c_f32_f16 v77, v111, v119
	v_dot2c_f32_f16 v76, v111, v120
	;; [unrolled: 1-line block ×16, first 2 shown]
	ds_read_b128 v[111:114], v80 offset:3584
	s_waitcnt lgkmcnt(1)
	v_dot2c_f32_f16 v63, v123, v115
	v_dot2c_f32_f16 v62, v123, v116
	;; [unrolled: 1-line block ×16, first 2 shown]
	ds_read_b128 v[115:118], v81 offset:19968
	v_dot2c_f32_f16 v61, v123, v119
	v_dot2c_f32_f16 v60, v123, v120
	v_dot2c_f32_f16 v19, v123, v121
	v_dot2c_f32_f16 v18, v123, v122
	v_dot2c_f32_f16 v56, v124, v119
	v_dot2c_f32_f16 v54, v124, v120
	v_dot2c_f32_f16 v21, v124, v121
	v_dot2c_f32_f16 v20, v124, v122
	v_dot2c_f32_f16 v48, v125, v119
	v_dot2c_f32_f16 v47, v125, v120
	v_dot2c_f32_f16 v27, v125, v121
	v_dot2c_f32_f16 v26, v125, v122
	v_dot2c_f32_f16 v55, v126, v119
	v_dot2c_f32_f16 v53, v126, v120
	v_dot2c_f32_f16 v28, v126, v121
	v_dot2c_f32_f16 v29, v126, v122
	ds_read_b128 v[119:122], v81 offset:20224
	ds_read_b128 v[123:126], v80 offset:3840
	s_waitcnt lgkmcnt(2)
	v_dot2c_f32_f16 v79, v111, v115
	v_dot2c_f32_f16 v78, v111, v116
	;; [unrolled: 1-line block ×16, first 2 shown]
	s_waitcnt lgkmcnt(1)
	v_dot2c_f32_f16 v77, v111, v119
	v_dot2c_f32_f16 v76, v111, v120
	;; [unrolled: 1-line block ×16, first 2 shown]
	ds_read_b128 v[111:114], v80 offset:4096
	s_waitcnt lgkmcnt(1)
	v_dot2c_f32_f16 v63, v123, v115
	v_dot2c_f32_f16 v62, v123, v116
	;; [unrolled: 1-line block ×16, first 2 shown]
	ds_read_b128 v[115:118], v81 offset:20480
	v_dot2c_f32_f16 v61, v123, v119
	v_dot2c_f32_f16 v60, v123, v120
	;; [unrolled: 1-line block ×16, first 2 shown]
	ds_read_b128 v[119:122], v81 offset:20736
	ds_read_b128 v[123:126], v80 offset:4352
	s_waitcnt lgkmcnt(2)
	v_dot2c_f32_f16 v79, v111, v115
	v_dot2c_f32_f16 v78, v111, v116
	;; [unrolled: 1-line block ×16, first 2 shown]
	s_waitcnt lgkmcnt(1)
	v_dot2c_f32_f16 v77, v111, v119
	v_dot2c_f32_f16 v76, v111, v120
	;; [unrolled: 1-line block ×16, first 2 shown]
	ds_read_b128 v[111:114], v80 offset:4608
	s_waitcnt lgkmcnt(1)
	v_dot2c_f32_f16 v63, v123, v115
	v_dot2c_f32_f16 v62, v123, v116
	;; [unrolled: 1-line block ×16, first 2 shown]
	ds_read_b128 v[115:118], v81 offset:20992
	v_dot2c_f32_f16 v61, v123, v119
	v_dot2c_f32_f16 v60, v123, v120
	;; [unrolled: 1-line block ×16, first 2 shown]
	ds_read_b128 v[119:122], v81 offset:21248
	ds_read_b128 v[123:126], v80 offset:4864
	s_waitcnt lgkmcnt(2)
	v_dot2c_f32_f16 v79, v111, v115
	v_dot2c_f32_f16 v78, v111, v116
	;; [unrolled: 1-line block ×16, first 2 shown]
	s_waitcnt lgkmcnt(1)
	v_dot2c_f32_f16 v77, v111, v119
	v_dot2c_f32_f16 v76, v111, v120
	;; [unrolled: 1-line block ×16, first 2 shown]
	ds_read_b128 v[111:114], v80 offset:5120
	s_waitcnt lgkmcnt(1)
	v_dot2c_f32_f16 v63, v123, v115
	v_dot2c_f32_f16 v62, v123, v116
	;; [unrolled: 1-line block ×16, first 2 shown]
	ds_read_b128 v[115:118], v81 offset:21504
	v_dot2c_f32_f16 v61, v123, v119
	v_dot2c_f32_f16 v60, v123, v120
	;; [unrolled: 1-line block ×16, first 2 shown]
	ds_read_b128 v[119:122], v81 offset:21760
	ds_read_b128 v[123:126], v80 offset:5376
	s_waitcnt lgkmcnt(2)
	v_dot2c_f32_f16 v79, v111, v115
	v_dot2c_f32_f16 v78, v111, v116
	;; [unrolled: 1-line block ×16, first 2 shown]
	s_waitcnt lgkmcnt(1)
	v_dot2c_f32_f16 v77, v111, v119
	v_dot2c_f32_f16 v76, v111, v120
	;; [unrolled: 1-line block ×16, first 2 shown]
	ds_read_b128 v[111:114], v80 offset:5632
	s_waitcnt lgkmcnt(1)
	v_dot2c_f32_f16 v63, v123, v115
	v_dot2c_f32_f16 v62, v123, v116
	;; [unrolled: 1-line block ×16, first 2 shown]
	ds_read_b128 v[115:118], v81 offset:22016
	v_dot2c_f32_f16 v61, v123, v119
	v_dot2c_f32_f16 v60, v123, v120
	;; [unrolled: 1-line block ×16, first 2 shown]
	ds_read_b128 v[119:122], v81 offset:22272
	ds_read_b128 v[123:126], v80 offset:5888
	s_waitcnt lgkmcnt(2)
	v_dot2c_f32_f16 v79, v111, v115
	v_dot2c_f32_f16 v78, v111, v116
	;; [unrolled: 1-line block ×16, first 2 shown]
	s_waitcnt lgkmcnt(1)
	v_dot2c_f32_f16 v77, v111, v119
	v_dot2c_f32_f16 v76, v111, v120
	;; [unrolled: 1-line block ×16, first 2 shown]
	ds_read_b128 v[111:114], v80 offset:6144
	s_waitcnt lgkmcnt(1)
	v_dot2c_f32_f16 v63, v123, v115
	v_dot2c_f32_f16 v62, v123, v116
	;; [unrolled: 1-line block ×16, first 2 shown]
	ds_read_b128 v[115:118], v81 offset:22528
	v_dot2c_f32_f16 v61, v123, v119
	v_dot2c_f32_f16 v60, v123, v120
	;; [unrolled: 1-line block ×16, first 2 shown]
	ds_read_b128 v[119:122], v81 offset:22784
	ds_read_b128 v[123:126], v80 offset:6400
	s_waitcnt lgkmcnt(2)
	v_dot2c_f32_f16 v79, v111, v115
	v_dot2c_f32_f16 v78, v111, v116
	;; [unrolled: 1-line block ×16, first 2 shown]
	s_waitcnt lgkmcnt(1)
	v_dot2c_f32_f16 v77, v111, v119
	v_dot2c_f32_f16 v76, v111, v120
	;; [unrolled: 1-line block ×16, first 2 shown]
	ds_read_b128 v[111:114], v80 offset:6656
	s_waitcnt lgkmcnt(1)
	v_dot2c_f32_f16 v63, v123, v115
	v_dot2c_f32_f16 v62, v123, v116
	;; [unrolled: 1-line block ×16, first 2 shown]
	ds_read_b128 v[115:118], v81 offset:23040
	v_dot2c_f32_f16 v61, v123, v119
	v_dot2c_f32_f16 v60, v123, v120
	;; [unrolled: 1-line block ×16, first 2 shown]
	ds_read_b128 v[119:122], v81 offset:23296
	ds_read_b128 v[123:126], v80 offset:6912
	s_waitcnt lgkmcnt(2)
	v_dot2c_f32_f16 v79, v111, v115
	v_dot2c_f32_f16 v78, v111, v116
	;; [unrolled: 1-line block ×16, first 2 shown]
	s_waitcnt lgkmcnt(1)
	v_dot2c_f32_f16 v77, v111, v119
	v_dot2c_f32_f16 v76, v111, v120
	;; [unrolled: 1-line block ×16, first 2 shown]
	ds_read_b128 v[111:114], v80 offset:7168
	s_waitcnt lgkmcnt(1)
	v_dot2c_f32_f16 v63, v123, v115
	v_dot2c_f32_f16 v62, v123, v116
	;; [unrolled: 1-line block ×16, first 2 shown]
	ds_read_b128 v[115:118], v81 offset:23552
	v_dot2c_f32_f16 v61, v123, v119
	v_dot2c_f32_f16 v60, v123, v120
	;; [unrolled: 1-line block ×16, first 2 shown]
	ds_read_b128 v[119:122], v81 offset:23808
	ds_read_b128 v[123:126], v80 offset:7424
	s_waitcnt lgkmcnt(2)
	v_dot2c_f32_f16 v79, v111, v115
	v_dot2c_f32_f16 v78, v111, v116
	;; [unrolled: 1-line block ×16, first 2 shown]
	s_waitcnt lgkmcnt(1)
	v_dot2c_f32_f16 v77, v111, v119
	v_dot2c_f32_f16 v76, v111, v120
	v_dot2c_f32_f16 v45, v111, v121
	v_dot2c_f32_f16 v44, v111, v122
	v_dot2c_f32_f16 v73, v112, v119
	v_dot2c_f32_f16 v72, v112, v120
	v_dot2c_f32_f16 v42, v112, v121
	v_dot2c_f32_f16 v43, v112, v122
	v_dot2c_f32_f16 v69, v113, v119
	v_dot2c_f32_f16 v68, v113, v120
	v_dot2c_f32_f16 v36, v113, v121
	v_dot2c_f32_f16 v37, v113, v122
	v_dot2c_f32_f16 v65, v114, v119
	v_dot2c_f32_f16 v64, v114, v120
	v_dot2c_f32_f16 v34, v114, v121
	v_dot2c_f32_f16 v35, v114, v122
	ds_read_b128 v[111:114], v80 offset:7680
	s_waitcnt lgkmcnt(1)
	v_dot2c_f32_f16 v63, v123, v115
	v_dot2c_f32_f16 v62, v123, v116
	;; [unrolled: 1-line block ×16, first 2 shown]
	ds_read_b128 v[115:118], v81 offset:24064
	v_dot2c_f32_f16 v61, v123, v119
	v_dot2c_f32_f16 v60, v123, v120
	;; [unrolled: 1-line block ×16, first 2 shown]
	ds_read_b128 v[119:122], v81 offset:24320
	ds_read_b128 v[123:126], v80 offset:7936
	ds_write2st64_b32 v3, v98, v97 offset0:32 offset1:34
	ds_write2st64_b32 v3, v96, v95 offset0:36 offset1:38
	;; [unrolled: 1-line block ×8, first 2 shown]
	v_add_nc_u32_e32 v95, s37, v10
	v_add_nc_u32_e32 v105, s53, v5
	s_waitcnt lgkmcnt(10)
	v_dot2c_f32_f16 v79, v111, v115
	v_dot2c_f32_f16 v78, v111, v116
	;; [unrolled: 1-line block ×3, first 2 shown]
	v_add_nc_u32_e32 v94, v95, v94
	v_cmp_gt_i32_e64 s1, s39, v95
	v_dot2c_f32_f16 v51, v111, v118
	v_dot2c_f32_f16 v75, v112, v115
	;; [unrolled: 1-line block ×3, first 2 shown]
	v_lshrrev_b32_e32 v94, s51, v94
	v_dot2c_f32_f16 v41, v112, v117
	v_dot2c_f32_f16 v40, v112, v118
	;; [unrolled: 1-line block ×4, first 2 shown]
	v_mad_u64_u32 v[98:99], null, s67, v94, v[95:96]
	v_mul_hi_u32 v96, v94, s46
	v_add_nc_u32_e32 v99, s37, v11
	s_waitcnt lgkmcnt(9)
	v_dot2c_f32_f16 v77, v111, v119
	v_dot2c_f32_f16 v76, v111, v120
	;; [unrolled: 1-line block ×4, first 2 shown]
	v_sub_nc_u32_e32 v0, v98, v0
	v_dot2c_f32_f16 v39, v113, v117
	v_add_nc_u32_e32 v96, v94, v96
	v_dot2c_f32_f16 v38, v113, v118
	v_dot2c_f32_f16 v67, v114, v115
	v_mul_lo_u32 v0, v0, s23
	v_dot2c_f32_f16 v66, v114, v116
	v_lshrrev_b32_e32 v100, s50, v96
	v_dot2c_f32_f16 v33, v114, v117
	v_dot2c_f32_f16 v32, v114, v118
	;; [unrolled: 1-line block ×4, first 2 shown]
	v_mul_lo_u32 v96, v100, s48
	v_sub_nc_u32_e32 v1, v100, v1
	v_dot2c_f32_f16 v42, v112, v121
	v_dot2c_f32_f16 v43, v112, v122
	;; [unrolled: 1-line block ×4, first 2 shown]
	v_mul_lo_u32 v1, v1, s52
	v_dot2c_f32_f16 v36, v113, v121
	v_sub_nc_u32_e32 v101, v94, v96
	v_dot2c_f32_f16 v37, v113, v122
	v_dot2c_f32_f16 v65, v114, v119
	;; [unrolled: 1-line block ×4, first 2 shown]
	v_sub_nc_u32_e32 v89, v101, v89
	v_add_nc_u32_e32 v103, v1, v91
	v_mad_u64_u32 v[0:1], null, v1, s21, v[0:1]
	v_dot2c_f32_f16 v35, v114, v122
	v_mul_lo_u32 v89, v89, s54
	s_waitcnt lgkmcnt(8)
	v_dot2c_f32_f16 v63, v123, v115
	v_dot2c_f32_f16 v62, v123, v116
	v_dot2c_f32_f16 v17, v123, v117
	v_dot2c_f32_f16 v16, v123, v118
	v_dot2c_f32_f16 v58, v124, v115
	v_dot2c_f32_f16 v57, v124, v116
	v_dot2c_f32_f16 v23, v124, v117
	v_add_nc_u32_e32 v102, v89, v90
	v_mul_lo_u32 v89, v89, s22
	v_dot2c_f32_f16 v22, v124, v118
	v_dot2c_f32_f16 v50, v125, v115
	v_dot2c_f32_f16 v49, v125, v116
	v_cmp_gt_i32_e64 s3, s14, v102
	v_cmp_le_i32_e64 s2, s62, v102
	v_dot2c_f32_f16 v25, v125, v117
	v_dot2c_f32_f16 v24, v125, v118
	v_add3_u32 v104, v0, v89, v92
	s_and_b32 s1, s3, s1
	v_dot2c_f32_f16 v46, v126, v115
	s_and_b32 s3, s1, s2
	v_cmp_le_i32_e64 s1, s61, v103
	v_lshlrev_b32_e32 v0, 1, v104
	v_cmp_gt_i32_e64 s2, s47, v103
	v_dot2c_f32_f16 v59, v126, v116
	v_dot2c_f32_f16 v31, v126, v117
	v_dot2c_f32_f16 v30, v126, v118
	buffer_load_dwordx4 v[89:92], v0, s[24:27], 0 offen
	s_and_b32 s1, s1, s2
	v_add_nc_u32_e32 v0, v99, v93
	s_and_b32 s1, s1, s3
	v_dot2c_f32_f16 v61, v123, v119
	s_and_b32 s1, s0, s1
	v_dot2c_f32_f16 v60, v123, v120
	v_dot2c_f32_f16 v19, v123, v121
	;; [unrolled: 1-line block ×15, first 2 shown]
	s_add_i32 s37, s37, s66
	s_waitcnt vmcnt(0)
	v_cndmask_b32_e64 v95, 0, v91, s1
	v_lshrrev_b32_e32 v91, s51, v0
	v_cndmask_b32_e64 v96, 0, v90, s1
	v_cndmask_b32_e64 v97, 0, v89, s1
	;; [unrolled: 1-line block ×3, first 2 shown]
	v_cmp_gt_i32_e64 s1, s39, v99
	v_mul_lo_u32 v0, v91, s49
	v_sub_nc_u32_e32 v90, v2, v0
	v_mad_u64_u32 v[0:1], null, s67, v91, v[99:100]
	v_sub_nc_u32_e32 v1, v0, v98
	v_mul_hi_u32 v0, v91, s46
	v_mul_lo_u32 v1, v1, s23
	v_add_nc_u32_e32 v0, v91, v0
	v_lshrrev_b32_e32 v89, s50, v0
	v_mul_lo_u32 v0, v89, s48
	v_sub_nc_u32_e32 v92, v89, v100
	v_mul_lo_u32 v98, v92, s52
	v_sub_nc_u32_e32 v91, v91, v0
	v_sub_nc_u32_e32 v0, v91, v101
	v_mad_u64_u32 v[100:101], null, v98, s21, v[1:2]
	v_add_nc_u32_e32 v92, v98, v103
	v_mul_lo_u32 v93, v0, s54
	v_add_nc_u32_e32 v0, v93, v102
	v_mul_lo_u32 v93, v93, s22
	v_cmp_gt_i32_e64 s3, s14, v0
	v_cmp_le_i32_e64 s2, s62, v0
	v_add3_u32 v1, v100, v93, v104
	s_and_b32 s1, s3, s1
	s_and_b32 s3, s1, s2
	v_cmp_le_i32_e64 s1, s61, v92
	v_lshlrev_b32_e32 v93, 1, v1
	v_cmp_gt_i32_e64 s2, s47, v92
	buffer_load_dwordx4 v[98:101], v93, s[24:27], 0 offen
	s_and_b32 s1, s1, s2
	v_add_nc_u32_e32 v93, v13, v88
	s_and_b32 s1, s1, s3
	s_and_b32 s1, s0, s1
	s_waitcnt vmcnt(0)
	v_cndmask_b32_e64 v101, 0, v101, s1
	v_cndmask_b32_e64 v102, 0, v100, s1
	;; [unrolled: 1-line block ×4, first 2 shown]
	v_cmp_gt_i32_e64 s1, s59, v105
	buffer_load_dwordx4 v[105:108], v93, s[28:31], 0 offen
	s_and_b32 s1, vcc_lo, s1
	s_waitcnt vmcnt(0)
	v_cndmask_b32_e64 v99, 0, v106, s1
	v_add_nc_u32_e32 v106, v12, v88
	v_cndmask_b32_e64 v93, 0, v108, s1
	v_cndmask_b32_e64 v100, 0, v105, s1
	v_add_nc_u32_e32 v105, s53, v4
	v_cndmask_b32_e64 v98, 0, v107, s1
	buffer_load_dwordx4 v[108:111], v106, s[28:31], 0 offen
	s_waitcnt lgkmcnt(0)
	s_barrier
	v_cmp_gt_i32_e64 s1, s59, v105
	v_add_nc_u32_e32 v88, s65, v88
	s_add_i32 s53, s53, s64
	s_and_b32 s1, vcc_lo, s1
	s_cmp_lt_i32 s55, s63
	s_waitcnt vmcnt(0)
	v_cndmask_b32_e64 v105, 0, v111, s1
	v_cndmask_b32_e64 v106, 0, v110, s1
	;; [unrolled: 1-line block ×3, first 2 shown]
	ds_read_b128 v[109:112], v80 offset:8192
	ds_read_b128 v[113:116], v81 offset:24576
	;; [unrolled: 1-line block ×4, first 2 shown]
	v_cndmask_b32_e64 v108, 0, v108, s1
	s_waitcnt lgkmcnt(2)
	v_dot2c_f32_f16 v79, v109, v113
	v_dot2c_f32_f16 v78, v109, v114
	v_dot2c_f32_f16 v52, v109, v115
	v_dot2c_f32_f16 v51, v109, v116
	v_dot2c_f32_f16 v75, v110, v113
	v_dot2c_f32_f16 v74, v110, v114
	v_dot2c_f32_f16 v41, v110, v115
	v_dot2c_f32_f16 v40, v110, v116
	v_dot2c_f32_f16 v71, v111, v113
	v_dot2c_f32_f16 v70, v111, v114
	v_dot2c_f32_f16 v39, v111, v115
	v_dot2c_f32_f16 v38, v111, v116
	v_dot2c_f32_f16 v67, v112, v113
	v_dot2c_f32_f16 v66, v112, v114
	v_dot2c_f32_f16 v33, v112, v115
	v_dot2c_f32_f16 v32, v112, v116
	s_waitcnt lgkmcnt(1)
	v_dot2c_f32_f16 v77, v109, v117
	v_dot2c_f32_f16 v76, v109, v118
	;; [unrolled: 1-line block ×16, first 2 shown]
	ds_read_b128 v[109:112], v80 offset:8704
	s_waitcnt lgkmcnt(1)
	v_dot2c_f32_f16 v63, v121, v113
	v_dot2c_f32_f16 v62, v121, v114
	;; [unrolled: 1-line block ×16, first 2 shown]
	ds_read_b128 v[113:116], v81 offset:25088
	v_dot2c_f32_f16 v61, v121, v117
	v_dot2c_f32_f16 v60, v121, v118
	;; [unrolled: 1-line block ×16, first 2 shown]
	ds_read_b128 v[117:120], v81 offset:25344
	ds_read_b128 v[121:124], v80 offset:8960
	s_waitcnt lgkmcnt(2)
	v_dot2c_f32_f16 v79, v109, v113
	v_dot2c_f32_f16 v78, v109, v114
	;; [unrolled: 1-line block ×16, first 2 shown]
	s_waitcnt lgkmcnt(1)
	v_dot2c_f32_f16 v77, v109, v117
	v_dot2c_f32_f16 v76, v109, v118
	;; [unrolled: 1-line block ×16, first 2 shown]
	ds_read_b128 v[109:112], v80 offset:9216
	s_waitcnt lgkmcnt(1)
	v_dot2c_f32_f16 v63, v121, v113
	v_dot2c_f32_f16 v62, v121, v114
	;; [unrolled: 1-line block ×16, first 2 shown]
	ds_read_b128 v[113:116], v81 offset:25600
	v_dot2c_f32_f16 v61, v121, v117
	v_dot2c_f32_f16 v60, v121, v118
	;; [unrolled: 1-line block ×16, first 2 shown]
	ds_read_b128 v[117:120], v81 offset:25856
	ds_read_b128 v[121:124], v80 offset:9472
	s_waitcnt lgkmcnt(2)
	v_dot2c_f32_f16 v79, v109, v113
	v_dot2c_f32_f16 v78, v109, v114
	;; [unrolled: 1-line block ×16, first 2 shown]
	s_waitcnt lgkmcnt(1)
	v_dot2c_f32_f16 v77, v109, v117
	v_dot2c_f32_f16 v76, v109, v118
	;; [unrolled: 1-line block ×16, first 2 shown]
	ds_read_b128 v[109:112], v80 offset:9728
	s_waitcnt lgkmcnt(1)
	v_dot2c_f32_f16 v63, v121, v113
	v_dot2c_f32_f16 v62, v121, v114
	;; [unrolled: 1-line block ×16, first 2 shown]
	ds_read_b128 v[113:116], v81 offset:26112
	v_dot2c_f32_f16 v61, v121, v117
	v_dot2c_f32_f16 v60, v121, v118
	;; [unrolled: 1-line block ×16, first 2 shown]
	ds_read_b128 v[117:120], v81 offset:26368
	ds_read_b128 v[121:124], v80 offset:9984
	s_waitcnt lgkmcnt(2)
	v_dot2c_f32_f16 v79, v109, v113
	v_dot2c_f32_f16 v78, v109, v114
	;; [unrolled: 1-line block ×16, first 2 shown]
	s_waitcnt lgkmcnt(1)
	v_dot2c_f32_f16 v77, v109, v117
	v_dot2c_f32_f16 v76, v109, v118
	;; [unrolled: 1-line block ×16, first 2 shown]
	ds_read_b128 v[109:112], v80 offset:10240
	s_waitcnt lgkmcnt(1)
	v_dot2c_f32_f16 v63, v121, v113
	v_dot2c_f32_f16 v62, v121, v114
	;; [unrolled: 1-line block ×16, first 2 shown]
	ds_read_b128 v[113:116], v81 offset:26624
	v_dot2c_f32_f16 v61, v121, v117
	v_dot2c_f32_f16 v60, v121, v118
	;; [unrolled: 1-line block ×16, first 2 shown]
	ds_read_b128 v[117:120], v81 offset:26880
	ds_read_b128 v[121:124], v80 offset:10496
	s_waitcnt lgkmcnt(2)
	v_dot2c_f32_f16 v79, v109, v113
	v_dot2c_f32_f16 v78, v109, v114
	;; [unrolled: 1-line block ×16, first 2 shown]
	s_waitcnt lgkmcnt(1)
	v_dot2c_f32_f16 v77, v109, v117
	v_dot2c_f32_f16 v76, v109, v118
	;; [unrolled: 1-line block ×16, first 2 shown]
	ds_read_b128 v[109:112], v80 offset:10752
	s_waitcnt lgkmcnt(1)
	v_dot2c_f32_f16 v63, v121, v113
	v_dot2c_f32_f16 v62, v121, v114
	;; [unrolled: 1-line block ×16, first 2 shown]
	ds_read_b128 v[113:116], v81 offset:27136
	v_dot2c_f32_f16 v61, v121, v117
	v_dot2c_f32_f16 v60, v121, v118
	;; [unrolled: 1-line block ×16, first 2 shown]
	ds_read_b128 v[117:120], v81 offset:27392
	ds_read_b128 v[121:124], v80 offset:11008
	s_waitcnt lgkmcnt(2)
	v_dot2c_f32_f16 v79, v109, v113
	v_dot2c_f32_f16 v78, v109, v114
	v_dot2c_f32_f16 v52, v109, v115
	v_dot2c_f32_f16 v51, v109, v116
	v_dot2c_f32_f16 v75, v110, v113
	v_dot2c_f32_f16 v74, v110, v114
	v_dot2c_f32_f16 v41, v110, v115
	v_dot2c_f32_f16 v40, v110, v116
	v_dot2c_f32_f16 v71, v111, v113
	v_dot2c_f32_f16 v70, v111, v114
	v_dot2c_f32_f16 v39, v111, v115
	v_dot2c_f32_f16 v38, v111, v116
	v_dot2c_f32_f16 v67, v112, v113
	v_dot2c_f32_f16 v66, v112, v114
	v_dot2c_f32_f16 v33, v112, v115
	v_dot2c_f32_f16 v32, v112, v116
	s_waitcnt lgkmcnt(1)
	v_dot2c_f32_f16 v77, v109, v117
	v_dot2c_f32_f16 v76, v109, v118
	;; [unrolled: 1-line block ×16, first 2 shown]
	ds_read_b128 v[109:112], v80 offset:11264
	s_waitcnt lgkmcnt(1)
	v_dot2c_f32_f16 v63, v121, v113
	v_dot2c_f32_f16 v62, v121, v114
	;; [unrolled: 1-line block ×16, first 2 shown]
	ds_read_b128 v[113:116], v81 offset:27648
	v_dot2c_f32_f16 v61, v121, v117
	v_dot2c_f32_f16 v60, v121, v118
	;; [unrolled: 1-line block ×16, first 2 shown]
	ds_read_b128 v[117:120], v81 offset:27904
	ds_read_b128 v[121:124], v80 offset:11520
	s_waitcnt lgkmcnt(2)
	v_dot2c_f32_f16 v79, v109, v113
	v_dot2c_f32_f16 v78, v109, v114
	;; [unrolled: 1-line block ×16, first 2 shown]
	s_waitcnt lgkmcnt(1)
	v_dot2c_f32_f16 v77, v109, v117
	v_dot2c_f32_f16 v76, v109, v118
	;; [unrolled: 1-line block ×16, first 2 shown]
	ds_read_b128 v[109:112], v80 offset:11776
	s_waitcnt lgkmcnt(1)
	v_dot2c_f32_f16 v63, v121, v113
	v_dot2c_f32_f16 v62, v121, v114
	;; [unrolled: 1-line block ×16, first 2 shown]
	ds_read_b128 v[113:116], v81 offset:28160
	v_dot2c_f32_f16 v61, v121, v117
	v_dot2c_f32_f16 v60, v121, v118
	;; [unrolled: 1-line block ×16, first 2 shown]
	ds_read_b128 v[117:120], v81 offset:28416
	ds_read_b128 v[121:124], v80 offset:12032
	s_waitcnt lgkmcnt(2)
	v_dot2c_f32_f16 v79, v109, v113
	v_dot2c_f32_f16 v78, v109, v114
	;; [unrolled: 1-line block ×16, first 2 shown]
	s_waitcnt lgkmcnt(1)
	v_dot2c_f32_f16 v77, v109, v117
	v_dot2c_f32_f16 v76, v109, v118
	;; [unrolled: 1-line block ×16, first 2 shown]
	ds_read_b128 v[109:112], v80 offset:12288
	s_waitcnt lgkmcnt(1)
	v_dot2c_f32_f16 v63, v121, v113
	v_dot2c_f32_f16 v62, v121, v114
	;; [unrolled: 1-line block ×16, first 2 shown]
	ds_read_b128 v[113:116], v81 offset:28672
	v_dot2c_f32_f16 v61, v121, v117
	v_dot2c_f32_f16 v60, v121, v118
	;; [unrolled: 1-line block ×16, first 2 shown]
	ds_read_b128 v[117:120], v81 offset:28928
	ds_read_b128 v[121:124], v80 offset:12544
	s_waitcnt lgkmcnt(2)
	v_dot2c_f32_f16 v79, v109, v113
	v_dot2c_f32_f16 v78, v109, v114
	;; [unrolled: 1-line block ×16, first 2 shown]
	s_waitcnt lgkmcnt(1)
	v_dot2c_f32_f16 v77, v109, v117
	v_dot2c_f32_f16 v76, v109, v118
	;; [unrolled: 1-line block ×16, first 2 shown]
	ds_read_b128 v[109:112], v80 offset:12800
	s_waitcnt lgkmcnt(1)
	v_dot2c_f32_f16 v63, v121, v113
	v_dot2c_f32_f16 v62, v121, v114
	;; [unrolled: 1-line block ×16, first 2 shown]
	ds_read_b128 v[113:116], v81 offset:29184
	v_dot2c_f32_f16 v61, v121, v117
	v_dot2c_f32_f16 v60, v121, v118
	;; [unrolled: 1-line block ×16, first 2 shown]
	ds_read_b128 v[117:120], v81 offset:29440
	ds_read_b128 v[121:124], v80 offset:13056
	s_waitcnt lgkmcnt(2)
	v_dot2c_f32_f16 v79, v109, v113
	v_dot2c_f32_f16 v78, v109, v114
	;; [unrolled: 1-line block ×16, first 2 shown]
	s_waitcnt lgkmcnt(1)
	v_dot2c_f32_f16 v77, v109, v117
	v_dot2c_f32_f16 v76, v109, v118
	;; [unrolled: 1-line block ×16, first 2 shown]
	ds_read_b128 v[109:112], v80 offset:13312
	s_waitcnt lgkmcnt(1)
	v_dot2c_f32_f16 v63, v121, v113
	v_dot2c_f32_f16 v62, v121, v114
	;; [unrolled: 1-line block ×16, first 2 shown]
	ds_read_b128 v[113:116], v81 offset:29696
	v_dot2c_f32_f16 v61, v121, v117
	v_dot2c_f32_f16 v60, v121, v118
	;; [unrolled: 1-line block ×16, first 2 shown]
	ds_read_b128 v[117:120], v81 offset:29952
	ds_read_b128 v[121:124], v80 offset:13568
	s_waitcnt lgkmcnt(2)
	v_dot2c_f32_f16 v79, v109, v113
	v_dot2c_f32_f16 v78, v109, v114
	;; [unrolled: 1-line block ×16, first 2 shown]
	s_waitcnt lgkmcnt(1)
	v_dot2c_f32_f16 v77, v109, v117
	v_dot2c_f32_f16 v76, v109, v118
	;; [unrolled: 1-line block ×16, first 2 shown]
	ds_read_b128 v[109:112], v80 offset:13824
	s_waitcnt lgkmcnt(1)
	v_dot2c_f32_f16 v63, v121, v113
	v_dot2c_f32_f16 v62, v121, v114
	;; [unrolled: 1-line block ×16, first 2 shown]
	ds_read_b128 v[113:116], v81 offset:30208
	v_dot2c_f32_f16 v61, v121, v117
	v_dot2c_f32_f16 v60, v121, v118
	v_dot2c_f32_f16 v19, v121, v119
	v_dot2c_f32_f16 v18, v121, v120
	v_dot2c_f32_f16 v56, v122, v117
	v_dot2c_f32_f16 v54, v122, v118
	v_dot2c_f32_f16 v21, v122, v119
	v_dot2c_f32_f16 v20, v122, v120
	v_dot2c_f32_f16 v48, v123, v117
	v_dot2c_f32_f16 v47, v123, v118
	v_dot2c_f32_f16 v27, v123, v119
	v_dot2c_f32_f16 v26, v123, v120
	v_dot2c_f32_f16 v55, v124, v117
	v_dot2c_f32_f16 v53, v124, v118
	v_dot2c_f32_f16 v28, v124, v119
	v_dot2c_f32_f16 v29, v124, v120
	ds_read_b128 v[117:120], v81 offset:30464
	ds_read_b128 v[121:124], v80 offset:14080
	s_waitcnt lgkmcnt(2)
	v_dot2c_f32_f16 v79, v109, v113
	v_dot2c_f32_f16 v78, v109, v114
	;; [unrolled: 1-line block ×16, first 2 shown]
	s_waitcnt lgkmcnt(1)
	v_dot2c_f32_f16 v77, v109, v117
	v_dot2c_f32_f16 v76, v109, v118
	;; [unrolled: 1-line block ×16, first 2 shown]
	ds_read_b128 v[109:112], v80 offset:14336
	s_waitcnt lgkmcnt(1)
	v_dot2c_f32_f16 v63, v121, v113
	v_dot2c_f32_f16 v62, v121, v114
	;; [unrolled: 1-line block ×16, first 2 shown]
	ds_read_b128 v[113:116], v81 offset:30720
	v_dot2c_f32_f16 v61, v121, v117
	v_dot2c_f32_f16 v60, v121, v118
	;; [unrolled: 1-line block ×16, first 2 shown]
	ds_read_b128 v[117:120], v81 offset:30976
	ds_read_b128 v[121:124], v80 offset:14592
	s_waitcnt lgkmcnt(2)
	v_dot2c_f32_f16 v79, v109, v113
	v_dot2c_f32_f16 v78, v109, v114
	;; [unrolled: 1-line block ×16, first 2 shown]
	s_waitcnt lgkmcnt(1)
	v_dot2c_f32_f16 v77, v109, v117
	v_dot2c_f32_f16 v76, v109, v118
	;; [unrolled: 1-line block ×16, first 2 shown]
	ds_read_b128 v[109:112], v80 offset:14848
	s_waitcnt lgkmcnt(1)
	v_dot2c_f32_f16 v63, v121, v113
	v_dot2c_f32_f16 v62, v121, v114
	;; [unrolled: 1-line block ×16, first 2 shown]
	ds_read_b128 v[113:116], v81 offset:31232
	v_dot2c_f32_f16 v61, v121, v117
	v_dot2c_f32_f16 v60, v121, v118
	;; [unrolled: 1-line block ×16, first 2 shown]
	ds_read_b128 v[117:120], v81 offset:31488
	ds_read_b128 v[121:124], v80 offset:15104
	s_waitcnt lgkmcnt(2)
	v_dot2c_f32_f16 v79, v109, v113
	v_dot2c_f32_f16 v78, v109, v114
	;; [unrolled: 1-line block ×16, first 2 shown]
	s_waitcnt lgkmcnt(1)
	v_dot2c_f32_f16 v77, v109, v117
	v_dot2c_f32_f16 v76, v109, v118
	v_dot2c_f32_f16 v45, v109, v119
	v_dot2c_f32_f16 v44, v109, v120
	v_dot2c_f32_f16 v73, v110, v117
	v_dot2c_f32_f16 v72, v110, v118
	v_dot2c_f32_f16 v42, v110, v119
	v_dot2c_f32_f16 v43, v110, v120
	v_dot2c_f32_f16 v69, v111, v117
	v_dot2c_f32_f16 v68, v111, v118
	v_dot2c_f32_f16 v36, v111, v119
	v_dot2c_f32_f16 v37, v111, v120
	v_dot2c_f32_f16 v65, v112, v117
	v_dot2c_f32_f16 v64, v112, v118
	v_dot2c_f32_f16 v34, v112, v119
	v_dot2c_f32_f16 v35, v112, v120
	ds_read_b128 v[109:112], v80 offset:15360
	s_waitcnt lgkmcnt(1)
	v_dot2c_f32_f16 v63, v121, v113
	v_dot2c_f32_f16 v62, v121, v114
	;; [unrolled: 1-line block ×16, first 2 shown]
	ds_read_b128 v[113:116], v81 offset:31744
	v_dot2c_f32_f16 v61, v121, v117
	v_dot2c_f32_f16 v60, v121, v118
	;; [unrolled: 1-line block ×16, first 2 shown]
	ds_read_b128 v[117:120], v81 offset:32000
	ds_read_b128 v[121:124], v80 offset:15616
	s_waitcnt lgkmcnt(2)
	v_dot2c_f32_f16 v79, v109, v113
	v_dot2c_f32_f16 v78, v109, v114
	;; [unrolled: 1-line block ×16, first 2 shown]
	s_waitcnt lgkmcnt(1)
	v_dot2c_f32_f16 v77, v109, v117
	v_dot2c_f32_f16 v76, v109, v118
	;; [unrolled: 1-line block ×16, first 2 shown]
	ds_read_b128 v[109:112], v80 offset:15872
	s_waitcnt lgkmcnt(1)
	v_dot2c_f32_f16 v63, v121, v113
	v_dot2c_f32_f16 v62, v121, v114
	;; [unrolled: 1-line block ×16, first 2 shown]
	ds_read_b128 v[113:116], v81 offset:32256
	v_dot2c_f32_f16 v61, v121, v117
	v_dot2c_f32_f16 v60, v121, v118
	v_dot2c_f32_f16 v19, v121, v119
	v_dot2c_f32_f16 v18, v121, v120
	v_dot2c_f32_f16 v56, v122, v117
	v_dot2c_f32_f16 v54, v122, v118
	v_dot2c_f32_f16 v21, v122, v119
	v_dot2c_f32_f16 v20, v122, v120
	v_dot2c_f32_f16 v48, v123, v117
	v_dot2c_f32_f16 v47, v123, v118
	v_dot2c_f32_f16 v27, v123, v119
	v_dot2c_f32_f16 v26, v123, v120
	v_dot2c_f32_f16 v55, v124, v117
	v_dot2c_f32_f16 v53, v124, v118
	v_dot2c_f32_f16 v28, v124, v119
	v_dot2c_f32_f16 v29, v124, v120
	ds_read_b128 v[117:120], v81 offset:32512
	ds_read_b128 v[121:124], v80 offset:16128
	ds_write2st64_b32 v3, v97, v96 offset1:2
	ds_write2st64_b32 v3, v95, v94 offset0:4 offset1:6
	ds_write2st64_b32 v3, v104, v103 offset0:8 offset1:10
	;; [unrolled: 1-line block ×7, first 2 shown]
	s_waitcnt lgkmcnt(10)
	v_dot2c_f32_f16 v79, v109, v113
	v_dot2c_f32_f16 v78, v109, v114
	v_dot2c_f32_f16 v52, v109, v115
	v_dot2c_f32_f16 v51, v109, v116
	v_dot2c_f32_f16 v75, v110, v113
	v_dot2c_f32_f16 v74, v110, v114
	v_dot2c_f32_f16 v41, v110, v115
	v_dot2c_f32_f16 v40, v110, v116
	v_dot2c_f32_f16 v71, v111, v113
	v_dot2c_f32_f16 v70, v111, v114
	v_dot2c_f32_f16 v39, v111, v115
	v_dot2c_f32_f16 v38, v111, v116
	v_dot2c_f32_f16 v67, v112, v113
	v_dot2c_f32_f16 v66, v112, v114
	v_dot2c_f32_f16 v33, v112, v115
	v_dot2c_f32_f16 v32, v112, v116
	s_waitcnt lgkmcnt(9)
	v_dot2c_f32_f16 v77, v109, v117
	v_dot2c_f32_f16 v76, v109, v118
	v_dot2c_f32_f16 v45, v109, v119
	v_dot2c_f32_f16 v44, v109, v120
	v_dot2c_f32_f16 v73, v110, v117
	v_dot2c_f32_f16 v72, v110, v118
	v_dot2c_f32_f16 v42, v110, v119
	v_dot2c_f32_f16 v43, v110, v120
	v_dot2c_f32_f16 v69, v111, v117
	v_dot2c_f32_f16 v68, v111, v118
	v_dot2c_f32_f16 v36, v111, v119
	v_dot2c_f32_f16 v37, v111, v120
	v_dot2c_f32_f16 v65, v112, v117
	v_dot2c_f32_f16 v64, v112, v118
	v_dot2c_f32_f16 v34, v112, v119
	v_dot2c_f32_f16 v35, v112, v120
	;; [unrolled: 17-line block ×3, first 2 shown]
	v_dot2c_f32_f16 v61, v121, v117
	v_dot2c_f32_f16 v60, v121, v118
	;; [unrolled: 1-line block ×16, first 2 shown]
	s_cbranch_scc1 .LBB6_1
; %bb.2:
	s_waitcnt lgkmcnt(0)
	s_barrier
	buffer_gl0_inv
	ds_read_b128 v[0:3], v80
	ds_read_b128 v[4:7], v81 offset:16384
	ds_read_b128 v[8:11], v81 offset:16640
	;; [unrolled: 1-line block ×5, first 2 shown]
	s_mul_i32 s0, s18, s60
	s_mul_hi_u32 s1, s18, s58
	v_lshl_or_b32 v83, s56, 7, v83
	s_add_i32 s2, s1, s0
	s_load_dwordx2 s[0:1], s[4:5], 0x10
	s_mul_i32 s3, s19, s58
	v_lshl_add_u32 v82, s57, 7, v82
	s_add_i32 s3, s2, s3
	s_mul_i32 s2, s18, s58
	s_mul_hi_u32 s6, s16, s58
	s_lshl_b64 s[2:3], s[2:3], 1
	v_cmp_gt_i32_e32 vcc_lo, s33, v82
	s_add_u32 s4, s44, s2
	s_mul_i32 s2, s16, s60
	s_addc_u32 s5, s45, s3
	s_waitcnt lgkmcnt(0)
	v_dot2c_f32_f16 v79, v0, v4
	v_dot2c_f32_f16 v78, v0, v5
	;; [unrolled: 1-line block ×32, first 2 shown]
	ds_read_b128 v[0:3], v80 offset:512
	v_dot2c_f32_f16 v63, v12, v4
	v_dot2c_f32_f16 v62, v12, v5
	;; [unrolled: 1-line block ×30, first 2 shown]
	ds_read_b128 v[4:7], v81 offset:17152
	v_dot2c_f32_f16 v28, v15, v10
	v_dot2c_f32_f16 v29, v15, v11
	ds_read_b128 v[8:11], v80 offset:768
	s_waitcnt lgkmcnt(2)
	v_dot2c_f32_f16 v79, v0, v84
	v_dot2c_f32_f16 v78, v0, v85
	v_dot2c_f32_f16 v52, v0, v86
	v_dot2c_f32_f16 v51, v0, v87
	v_dot2c_f32_f16 v75, v1, v84
	v_dot2c_f32_f16 v74, v1, v85
	v_dot2c_f32_f16 v41, v1, v86
	v_dot2c_f32_f16 v40, v1, v87
	v_dot2c_f32_f16 v71, v2, v84
	v_dot2c_f32_f16 v70, v2, v85
	v_dot2c_f32_f16 v39, v2, v86
	v_dot2c_f32_f16 v38, v2, v87
	v_dot2c_f32_f16 v67, v3, v84
	v_dot2c_f32_f16 v66, v3, v85
	v_dot2c_f32_f16 v33, v3, v86
	v_dot2c_f32_f16 v32, v3, v87
	ds_read_b128 v[12:15], v81 offset:17408
	s_waitcnt lgkmcnt(2)
	v_dot2c_f32_f16 v77, v0, v4
	v_dot2c_f32_f16 v76, v0, v5
	v_dot2c_f32_f16 v45, v0, v6
	v_dot2c_f32_f16 v44, v0, v7
	v_dot2c_f32_f16 v73, v1, v4
	v_dot2c_f32_f16 v72, v1, v5
	v_dot2c_f32_f16 v42, v1, v6
	v_dot2c_f32_f16 v43, v1, v7
	v_dot2c_f32_f16 v69, v2, v4
	v_dot2c_f32_f16 v68, v2, v5
	v_dot2c_f32_f16 v36, v2, v6
	v_dot2c_f32_f16 v37, v2, v7
	v_dot2c_f32_f16 v65, v3, v4
	v_dot2c_f32_f16 v64, v3, v5
	;; [unrolled: 18-line block ×3, first 2 shown]
	v_dot2c_f32_f16 v31, v11, v86
	v_dot2c_f32_f16 v30, v11, v87
	;; [unrolled: 1-line block ×16, first 2 shown]
	ds_read_b128 v[84:87], v81 offset:17664
	v_dot2c_f32_f16 v28, v11, v6
	v_dot2c_f32_f16 v29, v11, v7
	ds_read_b128 v[4:7], v80 offset:1280
	s_waitcnt lgkmcnt(2)
	v_dot2c_f32_f16 v79, v0, v12
	v_dot2c_f32_f16 v78, v0, v13
	v_dot2c_f32_f16 v52, v0, v14
	v_dot2c_f32_f16 v51, v0, v15
	v_dot2c_f32_f16 v75, v1, v12
	v_dot2c_f32_f16 v74, v1, v13
	v_dot2c_f32_f16 v41, v1, v14
	v_dot2c_f32_f16 v40, v1, v15
	v_dot2c_f32_f16 v71, v2, v12
	v_dot2c_f32_f16 v70, v2, v13
	v_dot2c_f32_f16 v39, v2, v14
	v_dot2c_f32_f16 v38, v2, v15
	v_dot2c_f32_f16 v67, v3, v12
	v_dot2c_f32_f16 v66, v3, v13
	v_dot2c_f32_f16 v33, v3, v14
	v_dot2c_f32_f16 v32, v3, v15
	ds_read_b128 v[8:11], v81 offset:17920
	s_waitcnt lgkmcnt(2)
	v_dot2c_f32_f16 v77, v0, v84
	v_dot2c_f32_f16 v76, v0, v85
	v_dot2c_f32_f16 v45, v0, v86
	v_dot2c_f32_f16 v44, v0, v87
	v_dot2c_f32_f16 v73, v1, v84
	v_dot2c_f32_f16 v72, v1, v85
	v_dot2c_f32_f16 v42, v1, v86
	v_dot2c_f32_f16 v43, v1, v87
	v_dot2c_f32_f16 v69, v2, v84
	v_dot2c_f32_f16 v68, v2, v85
	v_dot2c_f32_f16 v36, v2, v86
	v_dot2c_f32_f16 v37, v2, v87
	v_dot2c_f32_f16 v65, v3, v84
	v_dot2c_f32_f16 v64, v3, v85
	;; [unrolled: 18-line block ×3, first 2 shown]
	v_dot2c_f32_f16 v31, v7, v14
	v_dot2c_f32_f16 v30, v7, v15
	v_dot2c_f32_f16 v61, v4, v84
	v_dot2c_f32_f16 v60, v4, v85
	v_dot2c_f32_f16 v19, v4, v86
	v_dot2c_f32_f16 v18, v4, v87
	v_dot2c_f32_f16 v56, v5, v84
	v_dot2c_f32_f16 v54, v5, v85
	v_dot2c_f32_f16 v21, v5, v86
	v_dot2c_f32_f16 v20, v5, v87
	v_dot2c_f32_f16 v48, v6, v84
	v_dot2c_f32_f16 v47, v6, v85
	v_dot2c_f32_f16 v27, v6, v86
	v_dot2c_f32_f16 v26, v6, v87
	v_dot2c_f32_f16 v55, v7, v84
	v_dot2c_f32_f16 v53, v7, v85
	ds_read_b128 v[12:15], v81 offset:18176
	v_dot2c_f32_f16 v28, v7, v86
	v_dot2c_f32_f16 v29, v7, v87
	ds_read_b128 v[4:7], v80 offset:1792
	s_waitcnt lgkmcnt(2)
	v_dot2c_f32_f16 v79, v0, v8
	v_dot2c_f32_f16 v78, v0, v9
	v_dot2c_f32_f16 v52, v0, v10
	v_dot2c_f32_f16 v51, v0, v11
	v_dot2c_f32_f16 v75, v1, v8
	v_dot2c_f32_f16 v74, v1, v9
	v_dot2c_f32_f16 v41, v1, v10
	v_dot2c_f32_f16 v40, v1, v11
	v_dot2c_f32_f16 v71, v2, v8
	v_dot2c_f32_f16 v70, v2, v9
	v_dot2c_f32_f16 v39, v2, v10
	v_dot2c_f32_f16 v38, v2, v11
	v_dot2c_f32_f16 v67, v3, v8
	v_dot2c_f32_f16 v66, v3, v9
	v_dot2c_f32_f16 v33, v3, v10
	v_dot2c_f32_f16 v32, v3, v11
	ds_read_b128 v[84:87], v81 offset:18432
	s_waitcnt lgkmcnt(2)
	v_dot2c_f32_f16 v77, v0, v12
	v_dot2c_f32_f16 v76, v0, v13
	v_dot2c_f32_f16 v45, v0, v14
	v_dot2c_f32_f16 v44, v0, v15
	v_dot2c_f32_f16 v73, v1, v12
	v_dot2c_f32_f16 v72, v1, v13
	v_dot2c_f32_f16 v42, v1, v14
	v_dot2c_f32_f16 v43, v1, v15
	v_dot2c_f32_f16 v69, v2, v12
	v_dot2c_f32_f16 v68, v2, v13
	v_dot2c_f32_f16 v36, v2, v14
	v_dot2c_f32_f16 v37, v2, v15
	v_dot2c_f32_f16 v65, v3, v12
	v_dot2c_f32_f16 v64, v3, v13
	;; [unrolled: 18-line block ×3, first 2 shown]
	v_dot2c_f32_f16 v31, v7, v10
	v_dot2c_f32_f16 v30, v7, v11
	;; [unrolled: 1-line block ×16, first 2 shown]
	ds_read_b128 v[8:11], v81 offset:18688
	v_dot2c_f32_f16 v28, v7, v14
	v_dot2c_f32_f16 v29, v7, v15
	ds_read_b128 v[4:7], v80 offset:2304
	s_waitcnt lgkmcnt(2)
	v_dot2c_f32_f16 v79, v0, v84
	v_dot2c_f32_f16 v78, v0, v85
	v_dot2c_f32_f16 v52, v0, v86
	v_dot2c_f32_f16 v51, v0, v87
	v_dot2c_f32_f16 v75, v1, v84
	v_dot2c_f32_f16 v74, v1, v85
	v_dot2c_f32_f16 v41, v1, v86
	v_dot2c_f32_f16 v40, v1, v87
	v_dot2c_f32_f16 v71, v2, v84
	v_dot2c_f32_f16 v70, v2, v85
	v_dot2c_f32_f16 v39, v2, v86
	v_dot2c_f32_f16 v38, v2, v87
	v_dot2c_f32_f16 v67, v3, v84
	v_dot2c_f32_f16 v66, v3, v85
	v_dot2c_f32_f16 v33, v3, v86
	v_dot2c_f32_f16 v32, v3, v87
	ds_read_b128 v[12:15], v81 offset:18944
	s_waitcnt lgkmcnt(2)
	v_dot2c_f32_f16 v77, v0, v8
	v_dot2c_f32_f16 v76, v0, v9
	v_dot2c_f32_f16 v45, v0, v10
	v_dot2c_f32_f16 v44, v0, v11
	v_dot2c_f32_f16 v73, v1, v8
	v_dot2c_f32_f16 v72, v1, v9
	v_dot2c_f32_f16 v42, v1, v10
	v_dot2c_f32_f16 v43, v1, v11
	v_dot2c_f32_f16 v69, v2, v8
	v_dot2c_f32_f16 v68, v2, v9
	v_dot2c_f32_f16 v36, v2, v10
	v_dot2c_f32_f16 v37, v2, v11
	v_dot2c_f32_f16 v65, v3, v8
	v_dot2c_f32_f16 v64, v3, v9
	;; [unrolled: 18-line block ×3, first 2 shown]
	v_dot2c_f32_f16 v31, v7, v86
	v_dot2c_f32_f16 v30, v7, v87
	;; [unrolled: 1-line block ×16, first 2 shown]
	ds_read_b128 v[84:87], v81 offset:19200
	v_dot2c_f32_f16 v28, v7, v10
	v_dot2c_f32_f16 v29, v7, v11
	ds_read_b128 v[4:7], v80 offset:2816
	s_waitcnt lgkmcnt(2)
	v_dot2c_f32_f16 v79, v0, v12
	v_dot2c_f32_f16 v78, v0, v13
	v_dot2c_f32_f16 v52, v0, v14
	v_dot2c_f32_f16 v51, v0, v15
	v_dot2c_f32_f16 v75, v1, v12
	v_dot2c_f32_f16 v74, v1, v13
	v_dot2c_f32_f16 v41, v1, v14
	v_dot2c_f32_f16 v40, v1, v15
	v_dot2c_f32_f16 v71, v2, v12
	v_dot2c_f32_f16 v70, v2, v13
	v_dot2c_f32_f16 v39, v2, v14
	v_dot2c_f32_f16 v38, v2, v15
	v_dot2c_f32_f16 v67, v3, v12
	v_dot2c_f32_f16 v66, v3, v13
	v_dot2c_f32_f16 v33, v3, v14
	v_dot2c_f32_f16 v32, v3, v15
	ds_read_b128 v[8:11], v81 offset:19456
	s_waitcnt lgkmcnt(2)
	v_dot2c_f32_f16 v77, v0, v84
	v_dot2c_f32_f16 v76, v0, v85
	v_dot2c_f32_f16 v45, v0, v86
	v_dot2c_f32_f16 v44, v0, v87
	v_dot2c_f32_f16 v73, v1, v84
	v_dot2c_f32_f16 v72, v1, v85
	v_dot2c_f32_f16 v42, v1, v86
	v_dot2c_f32_f16 v43, v1, v87
	v_dot2c_f32_f16 v69, v2, v84
	v_dot2c_f32_f16 v68, v2, v85
	v_dot2c_f32_f16 v36, v2, v86
	v_dot2c_f32_f16 v37, v2, v87
	v_dot2c_f32_f16 v65, v3, v84
	v_dot2c_f32_f16 v64, v3, v85
	;; [unrolled: 18-line block ×3, first 2 shown]
	v_dot2c_f32_f16 v31, v7, v14
	v_dot2c_f32_f16 v30, v7, v15
	;; [unrolled: 1-line block ×16, first 2 shown]
	ds_read_b128 v[12:15], v81 offset:19712
	v_dot2c_f32_f16 v28, v7, v86
	v_dot2c_f32_f16 v29, v7, v87
	ds_read_b128 v[4:7], v80 offset:3328
	s_waitcnt lgkmcnt(2)
	v_dot2c_f32_f16 v79, v0, v8
	v_dot2c_f32_f16 v78, v0, v9
	v_dot2c_f32_f16 v52, v0, v10
	v_dot2c_f32_f16 v51, v0, v11
	v_dot2c_f32_f16 v75, v1, v8
	v_dot2c_f32_f16 v74, v1, v9
	v_dot2c_f32_f16 v41, v1, v10
	v_dot2c_f32_f16 v40, v1, v11
	v_dot2c_f32_f16 v71, v2, v8
	v_dot2c_f32_f16 v70, v2, v9
	v_dot2c_f32_f16 v39, v2, v10
	v_dot2c_f32_f16 v38, v2, v11
	v_dot2c_f32_f16 v67, v3, v8
	v_dot2c_f32_f16 v66, v3, v9
	v_dot2c_f32_f16 v33, v3, v10
	v_dot2c_f32_f16 v32, v3, v11
	ds_read_b128 v[84:87], v81 offset:19968
	s_waitcnt lgkmcnt(2)
	v_dot2c_f32_f16 v77, v0, v12
	v_dot2c_f32_f16 v76, v0, v13
	v_dot2c_f32_f16 v45, v0, v14
	v_dot2c_f32_f16 v44, v0, v15
	v_dot2c_f32_f16 v73, v1, v12
	v_dot2c_f32_f16 v72, v1, v13
	v_dot2c_f32_f16 v42, v1, v14
	v_dot2c_f32_f16 v43, v1, v15
	v_dot2c_f32_f16 v69, v2, v12
	v_dot2c_f32_f16 v68, v2, v13
	v_dot2c_f32_f16 v36, v2, v14
	v_dot2c_f32_f16 v37, v2, v15
	v_dot2c_f32_f16 v65, v3, v12
	v_dot2c_f32_f16 v64, v3, v13
	;; [unrolled: 18-line block ×3, first 2 shown]
	v_dot2c_f32_f16 v31, v7, v10
	v_dot2c_f32_f16 v30, v7, v11
	v_dot2c_f32_f16 v61, v4, v12
	v_dot2c_f32_f16 v60, v4, v13
	v_dot2c_f32_f16 v19, v4, v14
	v_dot2c_f32_f16 v18, v4, v15
	v_dot2c_f32_f16 v56, v5, v12
	v_dot2c_f32_f16 v54, v5, v13
	v_dot2c_f32_f16 v21, v5, v14
	v_dot2c_f32_f16 v20, v5, v15
	v_dot2c_f32_f16 v48, v6, v12
	v_dot2c_f32_f16 v47, v6, v13
	v_dot2c_f32_f16 v27, v6, v14
	v_dot2c_f32_f16 v26, v6, v15
	v_dot2c_f32_f16 v55, v7, v12
	v_dot2c_f32_f16 v53, v7, v13
	ds_read_b128 v[8:11], v81 offset:20224
	v_dot2c_f32_f16 v28, v7, v14
	v_dot2c_f32_f16 v29, v7, v15
	ds_read_b128 v[4:7], v80 offset:3840
	s_waitcnt lgkmcnt(2)
	v_dot2c_f32_f16 v79, v0, v84
	v_dot2c_f32_f16 v78, v0, v85
	v_dot2c_f32_f16 v52, v0, v86
	v_dot2c_f32_f16 v51, v0, v87
	v_dot2c_f32_f16 v75, v1, v84
	v_dot2c_f32_f16 v74, v1, v85
	v_dot2c_f32_f16 v41, v1, v86
	v_dot2c_f32_f16 v40, v1, v87
	v_dot2c_f32_f16 v71, v2, v84
	v_dot2c_f32_f16 v70, v2, v85
	v_dot2c_f32_f16 v39, v2, v86
	v_dot2c_f32_f16 v38, v2, v87
	v_dot2c_f32_f16 v67, v3, v84
	v_dot2c_f32_f16 v66, v3, v85
	v_dot2c_f32_f16 v33, v3, v86
	v_dot2c_f32_f16 v32, v3, v87
	ds_read_b128 v[12:15], v81 offset:20480
	s_waitcnt lgkmcnt(2)
	v_dot2c_f32_f16 v77, v0, v8
	v_dot2c_f32_f16 v76, v0, v9
	v_dot2c_f32_f16 v45, v0, v10
	v_dot2c_f32_f16 v44, v0, v11
	v_dot2c_f32_f16 v73, v1, v8
	v_dot2c_f32_f16 v72, v1, v9
	v_dot2c_f32_f16 v42, v1, v10
	v_dot2c_f32_f16 v43, v1, v11
	v_dot2c_f32_f16 v69, v2, v8
	v_dot2c_f32_f16 v68, v2, v9
	v_dot2c_f32_f16 v36, v2, v10
	v_dot2c_f32_f16 v37, v2, v11
	v_dot2c_f32_f16 v65, v3, v8
	v_dot2c_f32_f16 v64, v3, v9
	;; [unrolled: 18-line block ×3, first 2 shown]
	v_dot2c_f32_f16 v31, v7, v86
	v_dot2c_f32_f16 v30, v7, v87
	;; [unrolled: 1-line block ×16, first 2 shown]
	ds_read_b128 v[84:87], v81 offset:20736
	v_dot2c_f32_f16 v28, v7, v10
	v_dot2c_f32_f16 v29, v7, v11
	ds_read_b128 v[4:7], v80 offset:4352
	s_waitcnt lgkmcnt(2)
	v_dot2c_f32_f16 v79, v0, v12
	v_dot2c_f32_f16 v78, v0, v13
	v_dot2c_f32_f16 v52, v0, v14
	v_dot2c_f32_f16 v51, v0, v15
	v_dot2c_f32_f16 v75, v1, v12
	v_dot2c_f32_f16 v74, v1, v13
	v_dot2c_f32_f16 v41, v1, v14
	v_dot2c_f32_f16 v40, v1, v15
	v_dot2c_f32_f16 v71, v2, v12
	v_dot2c_f32_f16 v70, v2, v13
	v_dot2c_f32_f16 v39, v2, v14
	v_dot2c_f32_f16 v38, v2, v15
	v_dot2c_f32_f16 v67, v3, v12
	v_dot2c_f32_f16 v66, v3, v13
	v_dot2c_f32_f16 v33, v3, v14
	v_dot2c_f32_f16 v32, v3, v15
	ds_read_b128 v[8:11], v81 offset:20992
	s_waitcnt lgkmcnt(2)
	v_dot2c_f32_f16 v77, v0, v84
	v_dot2c_f32_f16 v76, v0, v85
	v_dot2c_f32_f16 v45, v0, v86
	v_dot2c_f32_f16 v44, v0, v87
	v_dot2c_f32_f16 v73, v1, v84
	v_dot2c_f32_f16 v72, v1, v85
	v_dot2c_f32_f16 v42, v1, v86
	v_dot2c_f32_f16 v43, v1, v87
	v_dot2c_f32_f16 v69, v2, v84
	v_dot2c_f32_f16 v68, v2, v85
	v_dot2c_f32_f16 v36, v2, v86
	v_dot2c_f32_f16 v37, v2, v87
	v_dot2c_f32_f16 v65, v3, v84
	v_dot2c_f32_f16 v64, v3, v85
	;; [unrolled: 18-line block ×3, first 2 shown]
	v_dot2c_f32_f16 v31, v7, v14
	v_dot2c_f32_f16 v30, v7, v15
	;; [unrolled: 1-line block ×16, first 2 shown]
	ds_read_b128 v[12:15], v81 offset:21248
	v_dot2c_f32_f16 v28, v7, v86
	v_dot2c_f32_f16 v29, v7, v87
	ds_read_b128 v[4:7], v80 offset:4864
	s_waitcnt lgkmcnt(2)
	v_dot2c_f32_f16 v79, v0, v8
	v_dot2c_f32_f16 v78, v0, v9
	v_dot2c_f32_f16 v52, v0, v10
	v_dot2c_f32_f16 v51, v0, v11
	v_dot2c_f32_f16 v75, v1, v8
	v_dot2c_f32_f16 v74, v1, v9
	v_dot2c_f32_f16 v41, v1, v10
	v_dot2c_f32_f16 v40, v1, v11
	v_dot2c_f32_f16 v71, v2, v8
	v_dot2c_f32_f16 v70, v2, v9
	v_dot2c_f32_f16 v39, v2, v10
	v_dot2c_f32_f16 v38, v2, v11
	v_dot2c_f32_f16 v67, v3, v8
	v_dot2c_f32_f16 v66, v3, v9
	v_dot2c_f32_f16 v33, v3, v10
	v_dot2c_f32_f16 v32, v3, v11
	ds_read_b128 v[84:87], v81 offset:21504
	s_waitcnt lgkmcnt(2)
	v_dot2c_f32_f16 v77, v0, v12
	v_dot2c_f32_f16 v76, v0, v13
	v_dot2c_f32_f16 v45, v0, v14
	v_dot2c_f32_f16 v44, v0, v15
	v_dot2c_f32_f16 v73, v1, v12
	v_dot2c_f32_f16 v72, v1, v13
	v_dot2c_f32_f16 v42, v1, v14
	v_dot2c_f32_f16 v43, v1, v15
	v_dot2c_f32_f16 v69, v2, v12
	v_dot2c_f32_f16 v68, v2, v13
	v_dot2c_f32_f16 v36, v2, v14
	v_dot2c_f32_f16 v37, v2, v15
	v_dot2c_f32_f16 v65, v3, v12
	v_dot2c_f32_f16 v64, v3, v13
	;; [unrolled: 18-line block ×3, first 2 shown]
	v_dot2c_f32_f16 v31, v7, v10
	v_dot2c_f32_f16 v30, v7, v11
	ds_read_b128 v[8:11], v81 offset:21760
	v_dot2c_f32_f16 v61, v4, v12
	v_dot2c_f32_f16 v60, v4, v13
	;; [unrolled: 1-line block ×16, first 2 shown]
	s_waitcnt lgkmcnt(1)
	v_dot2c_f32_f16 v79, v0, v84
	v_dot2c_f32_f16 v78, v0, v85
	;; [unrolled: 1-line block ×16, first 2 shown]
	ds_read_b128 v[12:15], v81 offset:22016
	s_waitcnt lgkmcnt(1)
	v_dot2c_f32_f16 v77, v0, v8
	v_dot2c_f32_f16 v76, v0, v9
	;; [unrolled: 1-line block ×16, first 2 shown]
	ds_read_b128 v[0:3], v80 offset:5632
	v_dot2c_f32_f16 v61, v88, v8
	v_dot2c_f32_f16 v60, v88, v9
	;; [unrolled: 1-line block ×14, first 2 shown]
	ds_read_b128 v[4:7], v81 offset:22272
	v_dot2c_f32_f16 v28, v91, v10
	v_dot2c_f32_f16 v29, v91, v11
	ds_read_b128 v[8:11], v80 offset:5888
	v_dot2c_f32_f16 v63, v88, v84
	v_dot2c_f32_f16 v58, v89, v84
	;; [unrolled: 1-line block ×4, first 2 shown]
	v_mul_lo_u32 v84, v83, s40
	v_dot2c_f32_f16 v62, v88, v85
	v_dot2c_f32_f16 v57, v89, v85
	;; [unrolled: 1-line block ×4, first 2 shown]
	s_add_i32 s2, s6, s2
	s_mul_i32 s3, s17, s58
	v_dot2c_f32_f16 v17, v88, v86
	v_mad_u64_u32 v[84:85], null, v82, s41, v[84:85]
	v_dot2c_f32_f16 v16, v88, v87
	s_add_i32 s3, s2, s3
	s_mul_i32 s2, s16, s58
	s_waitcnt lgkmcnt(2)
	v_dot2c_f32_f16 v79, v0, v12
	s_lshl_b64 s[2:3], s[2:3], 1
	v_dot2c_f32_f16 v78, v0, v13
	s_add_u32 s0, s0, s2
	v_dot2c_f32_f16 v52, v0, v14
	v_dot2c_f32_f16 v51, v0, v15
	v_dot2c_f32_f16 v75, v1, v12
	v_dot2c_f32_f16 v74, v1, v13
	v_dot2c_f32_f16 v41, v1, v14
	v_dot2c_f32_f16 v40, v1, v15
	v_dot2c_f32_f16 v71, v2, v12
	v_dot2c_f32_f16 v70, v2, v13
	v_dot2c_f32_f16 v39, v2, v14
	v_dot2c_f32_f16 v38, v2, v15
	v_dot2c_f32_f16 v67, v3, v12
	v_dot2c_f32_f16 v66, v3, v13
	v_dot2c_f32_f16 v33, v3, v14
	v_dot2c_f32_f16 v32, v3, v15
	s_waitcnt lgkmcnt(1)
	v_dot2c_f32_f16 v77, v0, v4
	v_dot2c_f32_f16 v76, v0, v5
	;; [unrolled: 1-line block ×16, first 2 shown]
	ds_read_b128 v[0:3], v80 offset:6144
	s_waitcnt lgkmcnt(1)
	v_dot2c_f32_f16 v63, v8, v12
	v_dot2c_f32_f16 v62, v8, v13
	;; [unrolled: 1-line block ×8, first 2 shown]
	v_lshlrev_b32_e32 v8, 1, v84
	s_addc_u32 s1, s1, s3
	s_lshl_b32 s2, s42, 1
	s_and_b32 s1, s1, 0xffff
	s_mov_b32 s3, 0x31014000
	v_dot2c_f32_f16 v23, v89, v86
	v_dot2c_f32_f16 v22, v89, v87
	buffer_load_dwordx2 v[88:89], v8, s[0:3], 0 offen
	s_lshl_b32 s6, s41, 6
	v_dot2c_f32_f16 v25, v90, v86
	v_add_lshl_u32 v8, v84, s6, 1
	v_dot2c_f32_f16 v24, v90, v87
	v_dot2c_f32_f16 v31, v91, v86
	;; [unrolled: 1-line block ×3, first 2 shown]
	v_add_nc_u32_e32 v84, s40, v84
	buffer_load_dwordx2 v[90:91], v8, s[0:3], 0 offen
	v_dot2c_f32_f16 v58, v9, v12
	v_dot2c_f32_f16 v57, v9, v13
	;; [unrolled: 1-line block ×3, first 2 shown]
	v_lshlrev_b32_e32 v85, 1, v84
	v_dot2c_f32_f16 v22, v9, v15
	v_dot2c_f32_f16 v50, v10, v12
	;; [unrolled: 1-line block ×4, first 2 shown]
	buffer_load_dwordx2 v[92:93], v85, s[0:3], 0 offen
	v_dot2c_f32_f16 v24, v10, v15
	v_dot2c_f32_f16 v46, v11, v12
	;; [unrolled: 1-line block ×5, first 2 shown]
	ds_read_b128 v[12:15], v81 offset:22528
	v_dot2c_f32_f16 v56, v9, v4
	v_dot2c_f32_f16 v54, v9, v5
	v_dot2c_f32_f16 v21, v9, v6
	v_dot2c_f32_f16 v20, v9, v7
	v_dot2c_f32_f16 v48, v10, v4
	v_dot2c_f32_f16 v47, v10, v5
	v_dot2c_f32_f16 v27, v10, v6
	v_dot2c_f32_f16 v26, v10, v7
	v_dot2c_f32_f16 v55, v11, v4
	v_dot2c_f32_f16 v53, v11, v5
	v_dot2c_f32_f16 v28, v11, v6
	v_dot2c_f32_f16 v29, v11, v7
	ds_read_b128 v[4:7], v81 offset:22784
	v_add_lshl_u32 v86, v84, s6, 1
	v_add_nc_u32_e32 v84, s40, v84
	s_and_b32 s5, s5, 0xffff
	s_mov_b32 s7, s3
	buffer_load_dwordx2 v[94:95], v86, s[0:3], 0 offen
	v_lshlrev_b32_e32 v85, 1, v84
	v_add_lshl_u32 v86, v84, s6, 1
	v_add_nc_u32_e32 v84, s40, v84
	s_waitcnt lgkmcnt(1)
	v_dot2c_f32_f16 v79, v0, v12
	v_dot2c_f32_f16 v78, v0, v13
	s_clause 0x1
	buffer_load_dwordx2 v[96:97], v85, s[0:3], 0 offen
	buffer_load_dwordx2 v[98:99], v86, s[0:3], 0 offen
	v_dot2c_f32_f16 v52, v0, v14
	v_dot2c_f32_f16 v51, v0, v15
	v_add_lshl_u32 v85, v84, s6, 1
	v_dot2c_f32_f16 v75, v1, v12
	v_dot2c_f32_f16 v74, v1, v13
	;; [unrolled: 1-line block ×3, first 2 shown]
	s_waitcnt lgkmcnt(0)
	v_dot2c_f32_f16 v77, v0, v4
	v_dot2c_f32_f16 v76, v0, v5
	;; [unrolled: 1-line block ×4, first 2 shown]
	v_lshlrev_b32_e32 v0, 1, v84
	buffer_load_dwordx2 v[102:103], v85, s[0:3], 0 offen
	v_mad_u64_u32 v[84:85], null, s40, 61, v[84:85]
	v_dot2c_f32_f16 v40, v1, v15
	buffer_load_dwordx2 v[100:101], v0, s[0:3], 0 offen
	ds_read_b128 v[8:11], v80 offset:6400
	v_dot2c_f32_f16 v71, v2, v12
	v_dot2c_f32_f16 v70, v2, v13
	;; [unrolled: 1-line block ×3, first 2 shown]
	v_lshlrev_b32_e32 v85, 1, v84
	v_add_lshl_u32 v86, v84, s6, 1
	v_add_nc_u32_e32 v84, s40, v84
	v_dot2c_f32_f16 v38, v2, v15
	v_dot2c_f32_f16 v67, v3, v12
	s_clause 0x1
	buffer_load_dwordx2 v[104:105], v85, s[0:3], 0 offen
	buffer_load_dwordx2 v[106:107], v86, s[0:3], 0 offen
	v_dot2c_f32_f16 v66, v3, v13
	v_dot2c_f32_f16 v33, v3, v14
	;; [unrolled: 1-line block ×15, first 2 shown]
	ds_read_b128 v[0:3], v80 offset:6656
	s_waitcnt lgkmcnt(1)
	v_dot2c_f32_f16 v63, v8, v12
	v_dot2c_f32_f16 v62, v8, v13
	;; [unrolled: 1-line block ×16, first 2 shown]
	v_lshlrev_b32_e32 v8, 1, v84
	v_add_lshl_u32 v9, v84, s6, 1
	v_dot2c_f32_f16 v50, v10, v12
	v_dot2c_f32_f16 v49, v10, v13
	;; [unrolled: 1-line block ×8, first 2 shown]
	ds_read_b128 v[12:15], v81 offset:23040
	v_dot2c_f32_f16 v48, v10, v4
	v_dot2c_f32_f16 v47, v10, v5
	;; [unrolled: 1-line block ×5, first 2 shown]
	s_clause 0x1
	buffer_load_dwordx2 v[108:109], v8, s[0:3], 0 offen
	buffer_load_dwordx2 v[110:111], v9, s[0:3], 0 offen
	v_dot2c_f32_f16 v53, v11, v5
	v_dot2c_f32_f16 v28, v11, v6
	;; [unrolled: 1-line block ×3, first 2 shown]
	ds_read_b128 v[4:7], v81 offset:23296
	ds_read_b128 v[8:11], v80 offset:6912
	v_add_nc_u32_e32 v84, s40, v84
	v_lshlrev_b32_e32 v85, 1, v84
	s_waitcnt lgkmcnt(2)
	v_dot2c_f32_f16 v79, v0, v12
	v_dot2c_f32_f16 v78, v0, v13
	buffer_load_dwordx2 v[112:113], v85, s[0:3], 0 offen
	v_add_lshl_u32 v85, v84, s6, 1
	v_add_nc_u32_e32 v84, s40, v84
	v_dot2c_f32_f16 v52, v0, v14
	v_dot2c_f32_f16 v51, v0, v15
	;; [unrolled: 1-line block ×3, first 2 shown]
	buffer_load_dwordx2 v[114:115], v85, s[0:3], 0 offen
	v_dot2c_f32_f16 v74, v1, v13
	s_waitcnt lgkmcnt(1)
	v_dot2c_f32_f16 v77, v0, v4
	v_dot2c_f32_f16 v76, v0, v5
	;; [unrolled: 1-line block ×4, first 2 shown]
	v_add_lshl_u32 v0, v84, s6, 1
	v_dot2c_f32_f16 v41, v1, v14
	v_dot2c_f32_f16 v40, v1, v15
	;; [unrolled: 1-line block ×4, first 2 shown]
	buffer_load_dwordx2 v[118:119], v0, s[0:3], 0 offen
	v_lshlrev_b32_e32 v85, 1, v84
	v_dot2c_f32_f16 v39, v2, v14
	v_dot2c_f32_f16 v38, v2, v15
	;; [unrolled: 1-line block ×4, first 2 shown]
	buffer_load_dwordx2 v[116:117], v85, s[0:3], 0 offen
	v_dot2c_f32_f16 v33, v3, v14
	v_dot2c_f32_f16 v32, v3, v15
	;; [unrolled: 1-line block ×14, first 2 shown]
	ds_read_b128 v[0:3], v80 offset:7168
	s_waitcnt lgkmcnt(1)
	v_dot2c_f32_f16 v63, v8, v12
	v_dot2c_f32_f16 v62, v8, v13
	;; [unrolled: 1-line block ×15, first 2 shown]
	ds_read_b128 v[84:87], v81 offset:23552
	v_dot2c_f32_f16 v30, v11, v15
	v_dot2c_f32_f16 v61, v8, v4
	;; [unrolled: 1-line block ×15, first 2 shown]
	ds_read_b128 v[12:15], v81 offset:23808
	v_dot2c_f32_f16 v28, v11, v6
	v_dot2c_f32_f16 v29, v11, v7
	ds_read_b128 v[4:7], v80 offset:7424
	s_waitcnt lgkmcnt(2)
	v_dot2c_f32_f16 v79, v0, v84
	v_dot2c_f32_f16 v78, v0, v85
	;; [unrolled: 1-line block ×16, first 2 shown]
	s_waitcnt lgkmcnt(1)
	v_dot2c_f32_f16 v77, v0, v12
	v_dot2c_f32_f16 v76, v0, v13
	;; [unrolled: 1-line block ×16, first 2 shown]
	ds_read_b128 v[0:3], v80 offset:7680
	s_waitcnt lgkmcnt(1)
	v_dot2c_f32_f16 v63, v4, v84
	v_dot2c_f32_f16 v62, v4, v85
	;; [unrolled: 1-line block ×15, first 2 shown]
	ds_read_b128 v[8:11], v81 offset:24064
	v_dot2c_f32_f16 v30, v7, v87
	v_dot2c_f32_f16 v61, v4, v12
	;; [unrolled: 1-line block ×17, first 2 shown]
	ds_read_b128 v[4:7], v80 offset:7936
	ds_read_b128 v[84:87], v81 offset:24320
	v_cmp_gt_i32_e64 s0, s15, v83
	s_waitcnt lgkmcnt(2)
	v_dot2c_f32_f16 v52, v0, v10
	v_dot2c_f32_f16 v41, v1, v10
	;; [unrolled: 1-line block ×4, first 2 shown]
	s_and_b32 s1, s0, vcc_lo
	v_dot2c_f32_f16 v79, v0, v8
	v_dot2c_f32_f16 v78, v0, v9
	;; [unrolled: 1-line block ×6, first 2 shown]
	v_or_b32_e32 v12, 1, v83
	v_dot2c_f32_f16 v74, v1, v9
	v_dot2c_f32_f16 v40, v1, v11
	;; [unrolled: 1-line block ×5, first 2 shown]
	s_waitcnt lgkmcnt(1)
	v_dot2c_f32_f16 v17, v4, v10
	v_dot2c_f32_f16 v23, v5, v10
	;; [unrolled: 1-line block ×4, first 2 shown]
	v_add_nc_u32_e32 v10, 64, v82
	s_waitcnt lgkmcnt(0)
	v_dot2c_f32_f16 v77, v0, v84
	v_dot2c_f32_f16 v76, v0, v85
	;; [unrolled: 1-line block ×14, first 2 shown]
	s_waitcnt vmcnt(15)
	v_cndmask_b32_e64 v8, 0, v89, s1
	v_cndmask_b32_e64 v0, 0, v88, s1
	v_cmp_gt_i32_e64 s1, s33, v10
	v_dot2c_f32_f16 v36, v2, v86
	v_dot2c_f32_f16 v37, v2, v87
	v_dot2c_f32_f16 v16, v4, v11
	v_cvt_f32_f16_e32 v1, v0
	s_and_b32 s0, s0, s1
	v_cvt_f32_f16_sdwa v0, v0 dst_sel:DWORD dst_unused:UNUSED_PAD src0_sel:WORD_1
	s_waitcnt vmcnt(14)
	v_cndmask_b32_e64 v2, 0, v90, s0
	v_dot2c_f32_f16 v22, v5, v11
	v_dot2c_f32_f16 v24, v6, v11
	;; [unrolled: 1-line block ×3, first 2 shown]
	v_cndmask_b32_e64 v11, 0, v91, s0
	v_cmp_gt_i32_e64 s0, s15, v12
	v_dot2c_f32_f16 v66, v3, v9
	v_dot2c_f32_f16 v65, v3, v84
	;; [unrolled: 1-line block ×5, first 2 shown]
	v_add_f32_e32 v1, v79, v1
	v_add_f32_e32 v0, v78, v0
	v_cvt_f32_f16_e32 v3, v2
	s_and_b32 s2, s0, vcc_lo
	v_cvt_f32_f16_sdwa v2, v2 dst_sel:DWORD dst_unused:UNUSED_PAD src0_sel:WORD_1
	v_dot2c_f32_f16 v62, v4, v9
	v_dot2c_f32_f16 v57, v5, v9
	;; [unrolled: 1-line block ×4, first 2 shown]
	v_max_f32_e32 v9, 0, v1
	v_max_f32_e32 v13, 0, v0
	v_add_f32_e32 v0, v77, v3
	s_waitcnt vmcnt(13)
	v_cndmask_b32_e64 v1, 0, v92, s2
	v_add_f32_e32 v2, v76, v2
	v_or_b32_e32 v76, 2, v83
	s_and_b32 s0, s0, s1
	v_max_f32_e32 v77, 0, v0
	v_cvt_f32_f16_e32 v0, v1
	v_cvt_f32_f16_sdwa v1, v1 dst_sel:DWORD dst_unused:UNUSED_PAD src0_sel:WORD_1
	v_dot2c_f32_f16 v61, v4, v84
	v_dot2c_f32_f16 v60, v4, v85
	;; [unrolled: 1-line block ×3, first 2 shown]
	s_waitcnt vmcnt(12)
	v_cndmask_b32_e64 v3, 0, v94, s0
	v_cndmask_b32_e64 v15, 0, v95, s0
	v_cmp_gt_i32_e64 s0, s15, v76
	v_add_f32_e32 v0, v75, v0
	v_add_f32_e32 v1, v74, v1
	v_dot2c_f32_f16 v18, v4, v87
	v_cvt_f32_f16_e32 v4, v3
	v_cndmask_b32_e64 v14, 0, v93, s2
	s_and_b32 s2, s0, vcc_lo
	v_max_f32_e32 v74, 0, v0
	v_max_f32_e32 v75, 0, v1
	v_cvt_f32_f16_sdwa v0, v3 dst_sel:DWORD dst_unused:UNUSED_PAD src0_sel:WORD_1
	s_waitcnt vmcnt(11)
	v_cndmask_b32_e64 v1, 0, v96, s2
	s_and_b32 s0, s0, s1
	v_or_b32_e32 v81, 3, v83
	v_add_f32_e32 v4, v73, v4
	v_max_f32_e32 v73, 0, v2
	s_waitcnt vmcnt(10)
	v_cndmask_b32_e64 v2, 0, v98, s0
	v_cndmask_b32_e64 v80, 0, v99, s0
	v_add_f32_e32 v0, v72, v0
	v_cvt_f32_f16_e32 v3, v1
	v_cmp_gt_i32_e64 s0, s15, v81
	v_max_f32_e32 v78, 0, v4
	v_cvt_f32_f16_sdwa v1, v1 dst_sel:DWORD dst_unused:UNUSED_PAD src0_sel:WORD_1
	v_cvt_f32_f16_e32 v4, v2
	v_cndmask_b32_e64 v79, 0, v97, s2
	v_max_f32_e32 v72, 0, v0
	v_add_f32_e32 v0, v71, v3
	s_and_b32 s2, s0, vcc_lo
	v_add_f32_e32 v1, v70, v1
	v_add_f32_e32 v3, v69, v4
	s_waitcnt vmcnt(8)
	v_cndmask_b32_e64 v4, 0, v100, s2
	v_max_f32_e32 v70, 0, v0
	s_and_b32 s0, s0, s1
	v_or_b32_e32 v0, 64, v83
	v_dot2c_f32_f16 v56, v5, v84
	v_dot2c_f32_f16 v48, v6, v84
	;; [unrolled: 1-line block ×3, first 2 shown]
	v_max_f32_e32 v71, 0, v1
	v_max_f32_e32 v84, 0, v3
	v_cvt_f32_f16_sdwa v1, v2 dst_sel:DWORD dst_unused:UNUSED_PAD src0_sel:WORD_1
	v_cvt_f32_f16_e32 v2, v4
	v_cvt_f32_f16_sdwa v3, v4 dst_sel:DWORD dst_unused:UNUSED_PAD src0_sel:WORD_1
	v_cndmask_b32_e64 v4, 0, v102, s0
	v_dot2c_f32_f16 v54, v5, v85
	v_dot2c_f32_f16 v47, v6, v85
	;; [unrolled: 1-line block ×3, first 2 shown]
	v_cndmask_b32_e64 v85, 0, v103, s0
	v_cmp_gt_i32_e64 s0, s15, v0
	v_dot2c_f32_f16 v21, v5, v86
	v_dot2c_f32_f16 v20, v5, v87
	v_cvt_f32_f16_e32 v5, v4
	v_cvt_f32_f16_sdwa v4, v4 dst_sel:DWORD dst_unused:UNUSED_PAD src0_sel:WORD_1
	v_add_f32_e32 v1, v68, v1
	v_add_f32_e32 v2, v67, v2
	v_cndmask_b32_e64 v69, 0, v101, s2
	s_and_b32 s2, s0, vcc_lo
	s_and_b32 s0, s0, s1
	v_dot2c_f32_f16 v28, v7, v86
	v_dot2c_f32_f16 v29, v7, v87
	s_waitcnt vmcnt(6)
	v_cndmask_b32_e64 v7, 0, v106, s0
	v_add_f32_e32 v64, v64, v4
	v_add_nc_u32_e32 v4, 0x41, v83
	v_add_f32_e32 v3, v66, v3
	v_max_f32_e32 v66, 0, v1
	v_max_f32_e32 v67, 0, v2
	v_add_f32_e32 v1, v65, v5
	v_cndmask_b32_e64 v2, 0, v104, s2
	v_dot2c_f32_f16 v27, v6, v86
	v_dot2c_f32_f16 v26, v6, v87
	v_cndmask_b32_e64 v5, 0, v107, s0
	v_cvt_f32_f16_e32 v6, v7
	v_cmp_gt_i32_e64 s0, s15, v4
	v_cvt_f32_f16_sdwa v7, v7 dst_sel:DWORD dst_unused:UNUSED_PAD src0_sel:WORD_1
	v_max_f32_e32 v65, 0, v1
	v_cvt_f32_f16_e32 v1, v2
	v_max_f32_e32 v68, 0, v3
	v_cndmask_b32_e64 v3, 0, v105, s2
	s_and_b32 s2, s0, vcc_lo
	v_add_f32_e32 v7, v60, v7
	v_add_nc_u32_e32 v60, 0x42, v83
	v_add_f32_e32 v1, v63, v1
	s_and_b32 s0, s0, s1
	s_waitcnt vmcnt(5)
	v_cndmask_b32_e64 v63, 0, v108, s2
	v_cvt_f32_f16_sdwa v2, v2 dst_sel:DWORD dst_unused:UNUSED_PAD src0_sel:WORD_1
	v_add_f32_e32 v6, v61, v6
	v_max_f32_e32 v61, 0, v64
	s_waitcnt vmcnt(4)
	v_cndmask_b32_e64 v64, 0, v111, s0
	v_cndmask_b32_e64 v86, 0, v110, s0
	v_cmp_gt_i32_e64 s0, s15, v60
	v_cvt_f32_f16_e32 v87, v63
	v_add_f32_e32 v2, v62, v2
	v_cndmask_b32_e64 v62, 0, v109, s2
	v_cvt_f32_f16_e32 v88, v86
	s_and_b32 s2, s0, vcc_lo
	v_max_f32_e32 v89, 0, v7
	v_add_f32_e32 v7, v58, v87
	v_cvt_f32_f16_sdwa v58, v86 dst_sel:DWORD dst_unused:UNUSED_PAD src0_sel:WORD_1
	s_and_b32 s0, s0, s1
	s_waitcnt vmcnt(3)
	v_cndmask_b32_e64 v86, 0, v112, s2
	v_add_f32_e32 v56, v56, v88
	v_max_f32_e32 v87, 0, v7
	v_add_f32_e32 v7, v54, v58
	v_cvt_f16_f32_e32 v9, v9
	v_cvt_f32_f16_e32 v54, v86
	v_cvt_f32_f16_sdwa v58, v86 dst_sel:DWORD dst_unused:UNUSED_PAD src0_sel:WORD_1
	v_add_nc_u32_e32 v86, 0x43, v83
	s_waitcnt vmcnt(2)
	v_cndmask_b32_e64 v88, 0, v115, s0
	v_cndmask_b32_e64 v90, 0, v114, s0
	v_max_f32_e32 v91, 0, v7
	v_add_f32_e32 v7, v50, v54
	v_cmp_gt_i32_e64 s0, s15, v86
	v_add_f32_e32 v49, v49, v58
	v_cvt_f32_f16_e32 v50, v90
	v_cvt_f32_f16_sdwa v54, v90 dst_sel:DWORD dst_unused:UNUSED_PAD src0_sel:WORD_1
	v_max_f32_e32 v92, 0, v7
	s_and_b32 vcc_lo, s0, vcc_lo
	v_cvt_f16_f32_e32 v13, v13
	v_add_f32_e32 v7, v48, v50
	v_add_f32_e32 v47, v47, v54
	v_cvt_f32_f16_sdwa v63, v63 dst_sel:DWORD dst_unused:UNUSED_PAD src0_sel:WORD_1
	s_lshl_b32 s6, s36, 1
	s_waitcnt vmcnt(0)
	v_cndmask_b32_e32 v90, 0, v116, vcc_lo
	v_cndmask_b32_e32 v58, 0, v117, vcc_lo
	s_and_b32 vcc_lo, s0, s1
	v_max_f32_e32 v93, 0, v7
	v_cndmask_b32_e32 v54, 0, v118, vcc_lo
	v_cvt_f32_f16_e32 v48, v90
	v_cvt_f32_f16_sdwa v90, v90 dst_sel:DWORD dst_unused:UNUSED_PAD src0_sel:WORD_1
	v_cndmask_b32_e32 v50, 0, v119, vcc_lo
	v_cmp_gt_i32_e32 vcc_lo, s20, v82
	v_cmp_gt_i32_e64 s1, s13, v83
	v_add_f32_e32 v7, v46, v48
	v_cvt_f32_f16_e32 v46, v54
	v_add_f32_e32 v48, v59, v90
	v_cvt_f32_f16_sdwa v59, v8 dst_sel:DWORD dst_unused:UNUSED_PAD src0_sel:WORD_1
	v_cvt_f32_f16_e32 v8, v8
	v_max_f32_e32 v90, 0, v7
	v_add_f32_e32 v7, v55, v46
	v_max_f32_e32 v46, 0, v48
	v_add_f32_e32 v48, v51, v59
	v_add_f32_e32 v8, v52, v8
	v_cvt_f32_f16_sdwa v51, v54 dst_sel:DWORD dst_unused:UNUSED_PAD src0_sel:WORD_1
	v_max_f32_e32 v52, 0, v7
	v_mul_lo_u32 v7, v83, s34
	v_max_f32_e32 v48, 0, v48
	v_max_f32_e32 v8, 0, v8
	v_add_f32_e32 v51, v53, v51
	s_and_b32 s0, s1, vcc_lo
	v_add_f32_e32 v57, v57, v63
	v_cvt_f16_f32_e32 v48, v48
	v_cvt_f16_f32_e32 v53, v8
	v_mad_u64_u32 v[7:8], null, v82, s35, v[7:8]
	v_pack_b32_f16 v8, v9, v13
	v_cvt_f32_f16_sdwa v13, v11 dst_sel:DWORD dst_unused:UNUSED_PAD src0_sel:WORD_1
	v_cvt_f32_f16_e32 v11, v11
	v_cndmask_b32_e64 v63, 0, v113, s2
	s_lshl_b32 s2, s35, 6
	v_pack_b32_f16 v9, v53, v48
	v_add_f32_e32 v13, v44, v13
	v_add_f32_e32 v11, v45, v11
	v_cndmask_b32_e64 v44, 0x80000000, 0, s0
	v_cmp_gt_i32_e64 s0, s20, v10
	v_cvt_f16_f32_e32 v10, v77
	v_max_f32_e32 v13, 0, v13
	v_max_f32_e32 v11, 0, v11
	v_cvt_f16_f32_e32 v48, v73
	s_and_b32 s1, s1, s0
	v_add_nc_u32_e32 v45, s2, v7
	v_cvt_f16_f32_e32 v13, v13
	v_cvt_f16_f32_e32 v11, v11
	v_cndmask_b32_e64 v53, 0x80000000, 0, s1
	v_lshl_add_u32 v44, v7, 1, v44
	v_pack_b32_f16 v10, v10, v48
	v_cvt_f32_f16_sdwa v48, v15 dst_sel:DWORD dst_unused:UNUSED_PAD src0_sel:WORD_1
	v_cvt_f32_f16_e32 v15, v15
	v_pack_b32_f16 v11, v11, v13
	v_lshl_add_u32 v13, v45, 1, v53
	buffer_store_dwordx2 v[8:9], v44, s[4:7], 0 offen
	buffer_store_dwordx2 v[10:11], v13, s[4:7], 0 offen
	v_add_f32_e32 v43, v43, v48
	v_add_f32_e32 v8, v42, v15
	v_cmp_gt_i32_e64 s1, s13, v12
	v_cvt_f32_f16_sdwa v12, v14 dst_sel:DWORD dst_unused:UNUSED_PAD src0_sel:WORD_1
	v_cvt_f32_f16_e32 v13, v14
	v_max_f32_e32 v9, 0, v43
	v_max_f32_e32 v8, 0, v8
	s_and_b32 s3, s1, s0
	v_add_nc_u32_e32 v15, s34, v45
	v_cvt_f16_f32_e32 v10, v78
	v_cvt_f16_f32_e32 v11, v72
	;; [unrolled: 1-line block ×4, first 2 shown]
	v_cndmask_b32_e64 v42, 0x80000000, 0, s3
	v_add_f32_e32 v12, v40, v12
	v_add_f32_e32 v13, v41, v13
	v_pack_b32_f16 v8, v10, v11
	v_pack_b32_f16 v9, v14, v9
	v_lshl_add_u32 v14, v15, 1, v42
	v_max_f32_e32 v10, 0, v12
	v_max_f32_e32 v11, 0, v13
	v_cvt_f16_f32_e32 v12, v74
	v_cvt_f16_f32_e32 v13, v75
	v_cvt_f32_f16_sdwa v41, v79 dst_sel:DWORD dst_unused:UNUSED_PAD src0_sel:WORD_1
	v_cvt_f32_f16_e32 v42, v79
	v_cvt_f16_f32_e32 v40, v10
	s_and_b32 s1, s1, vcc_lo
	v_pack_b32_f16 v10, v12, v13
	v_add_f32_e32 v12, v38, v41
	v_add_f32_e32 v13, v39, v42
	v_cndmask_b32_e64 v43, 0x80000000, 0, s1
	v_cmp_gt_i32_e64 s1, s13, v76
	v_add_nc_u32_e32 v7, s34, v7
	v_cvt_f16_f32_e32 v11, v11
	v_max_f32_e32 v12, 0, v12
	v_max_f32_e32 v13, 0, v13
	s_and_b32 s3, s1, vcc_lo
	v_lshl_add_u32 v38, v7, 1, v43
	v_pack_b32_f16 v11, v11, v40
	v_cvt_f16_f32_e32 v39, v70
	v_cvt_f16_f32_e32 v40, v71
	v_cvt_f32_f16_sdwa v43, v80 dst_sel:DWORD dst_unused:UNUSED_PAD src0_sel:WORD_1
	v_add_nc_u32_e32 v7, s34, v7
	v_cvt_f16_f32_e32 v41, v12
	v_cvt_f16_f32_e32 v13, v13
	v_cndmask_b32_e64 v42, 0x80000000, 0, s3
	v_pack_b32_f16 v12, v39, v40
	v_cvt_f32_f16_e32 v39, v80
	v_add_f32_e32 v37, v37, v43
	v_pack_b32_f16 v13, v13, v41
	v_lshl_add_u32 v7, v7, 1, v42
	buffer_store_dwordx2 v[8:9], v14, s[4:7], 0 offen
	v_add_f32_e32 v8, v36, v39
	buffer_store_dwordx2 v[10:11], v38, s[4:7], 0 offen
	buffer_store_dwordx2 v[12:13], v7, s[4:7], 0 offen
	v_max_f32_e32 v7, 0, v37
	v_cvt_f16_f32_e32 v9, v84
	v_max_f32_e32 v8, 0, v8
	v_cvt_f16_f32_e32 v10, v66
	v_cvt_f32_f16_e32 v12, v85
	v_cvt_f16_f32_e32 v11, v7
	v_cvt_f32_f16_sdwa v7, v85 dst_sel:DWORD dst_unused:UNUSED_PAD src0_sel:WORD_1
	v_add_nc_u32_e32 v13, s34, v15
	v_cvt_f16_f32_e32 v8, v8
	s_and_b32 s1, s1, s0
	v_max_f32_e32 v51, 0, v51
	v_add_f32_e32 v15, v35, v7
	v_pack_b32_f16 v7, v9, v10
	v_add_f32_e32 v9, v34, v12
	v_pack_b32_f16 v8, v8, v11
	v_cvt_f16_f32_e32 v11, v65
	v_cvt_f16_f32_e32 v12, v61
	v_cvt_f32_f16_sdwa v34, v69 dst_sel:DWORD dst_unused:UNUSED_PAD src0_sel:WORD_1
	v_max_f32_e32 v9, 0, v9
	v_cvt_f32_f16_e32 v35, v69
	v_cndmask_b32_e64 v14, 0x80000000, 0, s1
	v_max_f32_e32 v10, 0, v15
	v_cmp_gt_i32_e64 s1, s13, v81
	v_cvt_f16_f32_e32 v36, v9
	v_pack_b32_f16 v9, v11, v12
	v_add_f32_e32 v11, v32, v34
	v_add_f32_e32 v12, v33, v35
	v_lshl_add_u32 v14, v13, 1, v14
	v_add_nc_u32_e32 v15, s34, v13
	v_cvt_f16_f32_e32 v10, v10
	v_max_f32_e32 v11, 0, v11
	v_max_f32_e32 v12, 0, v12
	v_cvt_f16_f32_e32 v34, v67
	v_cvt_f16_f32_e32 v35, v68
	s_and_b32 s3, s1, s0
	s_and_b32 s1, s1, vcc_lo
	v_pack_b32_f16 v10, v36, v10
	v_cndmask_b32_e64 v32, 0x80000000, 0, s3
	v_subrev_nc_u32_e32 v33, s2, v15
	v_cvt_f16_f32_e32 v36, v11
	v_cvt_f16_f32_e32 v12, v12
	v_cndmask_b32_e64 v37, 0x80000000, 0, s1
	v_pack_b32_f16 v11, v34, v35
	v_cvt_f32_f16_e32 v34, v58
	buffer_store_dwordx2 v[7:8], v14, s[4:7], 0 offen
	v_cvt_f32_f16_sdwa v7, v58 dst_sel:DWORD dst_unused:UNUSED_PAD src0_sel:WORD_1
	v_lshl_add_u32 v32, v15, 1, v32
	v_pack_b32_f16 v12, v12, v36
	v_lshl_add_u32 v35, v33, 1, v37
	v_add_f32_e32 v8, v31, v34
	v_add_f32_e32 v7, v30, v7
	v_cmp_gt_i32_e64 s1, s13, v86
	buffer_store_dwordx2 v[9:10], v32, s[4:7], 0 offen
	buffer_store_dwordx2 v[11:12], v35, s[4:7], 0 offen
	v_max_f32_e32 v8, 0, v8
	v_max_f32_e32 v7, 0, v7
	v_cvt_f32_f16_e32 v12, v50
	v_cvt_f32_f16_sdwa v14, v50 dst_sel:DWORD dst_unused:UNUSED_PAD src0_sel:WORD_1
	s_lshl_b32 s3, s34, 6
	s_and_b32 s8, s1, vcc_lo
	v_add_nc_u32_e32 v9, s3, v33
	v_cvt_f16_f32_e32 v10, v90
	v_cvt_f16_f32_e32 v11, v46
	;; [unrolled: 1-line block ×4, first 2 shown]
	v_cndmask_b32_e64 v31, 0x80000000, 0, s8
	v_add_f32_e32 v12, v28, v12
	v_add_f32_e32 v14, v29, v14
	v_pack_b32_f16 v7, v10, v11
	v_pack_b32_f16 v8, v8, v30
	v_lshl_add_u32 v28, v9, 1, v31
	v_max_f32_e32 v9, 0, v12
	v_max_f32_e32 v10, 0, v14
	v_cvt_f16_f32_e32 v12, v52
	v_cvt_f16_f32_e32 v14, v51
	v_cvt_f32_f16_sdwa v29, v88 dst_sel:DWORD dst_unused:UNUSED_PAD src0_sel:WORD_1
	v_cvt_f32_f16_e32 v30, v88
	s_and_b32 s1, s1, s0
	v_max_f32_e32 v47, 0, v47
	v_add_nc_u32_e32 v11, s3, v15
	v_cvt_f16_f32_e32 v15, v9
	v_cvt_f16_f32_e32 v10, v10
	v_cndmask_b32_e64 v31, 0x80000000, 0, s1
	v_pack_b32_f16 v9, v12, v14
	v_add_f32_e32 v12, v26, v29
	v_add_f32_e32 v14, v27, v30
	v_cmp_ge_i32_e64 s1, s13, v86
	v_pack_b32_f16 v10, v15, v10
	v_lshl_add_u32 v15, v11, 1, v31
	v_max_f32_e32 v11, 0, v12
	v_max_f32_e32 v12, 0, v14
	v_cvt_f16_f32_e32 v14, v93
	v_cvt_f16_f32_e32 v26, v47
	s_and_b32 s1, s1, s0
	v_cvt_f16_f32_e32 v27, v11
	v_add_nc_u32_e32 v13, s3, v13
	v_cvt_f16_f32_e32 v12, v12
	v_pack_b32_f16 v11, v14, v26
	v_cvt_f32_f16_sdwa v14, v63 dst_sel:DWORD dst_unused:UNUSED_PAD src0_sel:WORD_1
	v_cndmask_b32_e64 v29, 0x80000000, 0, s1
	v_max_f32_e32 v49, 0, v49
	buffer_store_dwordx2 v[7:8], v28, s[4:7], 0 offen
	v_pack_b32_f16 v12, v12, v27
	v_add_f32_e32 v7, v24, v14
	v_lshl_add_u32 v27, v13, 1, v29
	v_cmp_gt_i32_e64 s1, s13, v60
	v_cvt_f32_f16_e32 v26, v63
	buffer_store_dwordx2 v[9:10], v15, s[4:7], 0 offen
	buffer_store_dwordx2 v[11:12], v27, s[4:7], 0 offen
	v_subrev_nc_u32_e32 v9, s2, v13
	v_max_f32_e32 v7, 0, v7
	v_cvt_f16_f32_e32 v10, v92
	v_cvt_f16_f32_e32 v11, v49
	v_cvt_f32_f16_e32 v13, v62
	v_cvt_f32_f16_sdwa v14, v62 dst_sel:DWORD dst_unused:UNUSED_PAD src0_sel:WORD_1
	s_and_b32 s1, s1, vcc_lo
	v_add_f32_e32 v8, v25, v26
	v_cvt_f16_f32_e32 v12, v7
	v_cndmask_b32_e64 v15, 0x80000000, 0, s1
	v_pack_b32_f16 v7, v10, v11
	v_add_f32_e32 v10, v22, v14
	v_add_f32_e32 v11, v23, v13
	v_max_f32_e32 v8, 0, v8
	v_lshl_add_u32 v13, v9, 1, v15
	v_cvt_f32_f16_e32 v14, v64
	v_max_f32_e32 v10, 0, v10
	v_max_f32_e32 v11, 0, v11
	v_cvt_f32_f16_sdwa v15, v64 dst_sel:DWORD dst_unused:UNUSED_PAD src0_sel:WORD_1
	v_max_f32_e32 v57, 0, v57
	v_cvt_f16_f32_e32 v8, v8
	v_cvt_f16_f32_e32 v10, v10
	;; [unrolled: 1-line block ×3, first 2 shown]
	v_add_f32_e32 v14, v21, v14
	v_add_f32_e32 v15, v20, v15
	v_cmp_ge_i32_e64 s1, s13, v60
	v_pack_b32_f16 v8, v8, v12
	v_subrev_nc_u32_e32 v12, s34, v9
	v_cvt_f16_f32_e32 v9, v87
	v_cvt_f16_f32_e32 v22, v57
	v_pack_b32_f16 v10, v11, v10
	v_max_f32_e32 v11, 0, v14
	v_max_f32_e32 v14, 0, v15
	s_and_b32 s1, s1, vcc_lo
	v_max_f32_e32 v56, 0, v56
	v_pack_b32_f16 v9, v9, v22
	v_cndmask_b32_e64 v15, 0x80000000, 0, s1
	v_cvt_f16_f32_e32 v14, v14
	v_cvt_f16_f32_e32 v22, v11
	v_max_f32_e32 v6, 0, v6
	v_cvt_f16_f32_e32 v20, v56
	v_cvt_f16_f32_e32 v21, v91
	v_lshl_add_u32 v15, v12, 1, v15
	v_add_nc_u32_e32 v23, s2, v12
	v_pack_b32_f16 v12, v22, v14
	v_cvt_f32_f16_e32 v14, v5
	v_cvt_f32_f16_sdwa v5, v5 dst_sel:DWORD dst_unused:UNUSED_PAD src0_sel:WORD_1
	v_cmp_gt_i32_e64 s1, s13, v4
	v_pack_b32_f16 v11, v20, v21
	v_cvt_f16_f32_e32 v6, v6
	v_cvt_f16_f32_e32 v21, v89
	v_add_f32_e32 v18, v18, v5
	v_add_f32_e32 v14, v19, v14
	s_and_b32 s1, s1, s0
	v_max_f32_e32 v1, 0, v1
	v_pack_b32_f16 v5, v6, v21
	v_max_f32_e32 v6, 0, v18
	v_max_f32_e32 v14, 0, v14
	v_cvt_f32_f16_sdwa v18, v3 dst_sel:DWORD dst_unused:UNUSED_PAD src0_sel:WORD_1
	v_cvt_f32_f16_e32 v3, v3
	v_cndmask_b32_e64 v20, 0x80000000, 0, s1
	v_cmp_ge_i32_e64 s1, s13, v4
	v_cvt_f16_f32_e32 v4, v6
	v_cvt_f16_f32_e32 v6, v14
	v_add_f32_e32 v14, v16, v18
	v_add_f32_e32 v3, v17, v3
	s_and_b32 s0, s1, s0
	v_max_f32_e32 v2, 0, v2
	v_cndmask_b32_e64 v16, 0x80000000, 0, s0
	v_cmp_gt_i32_e64 s0, s13, v0
	v_lshl_add_u32 v19, v23, 1, v20
	v_subrev_nc_u32_e32 v20, s34, v23
	v_max_f32_e32 v14, 0, v14
	v_max_f32_e32 v3, 0, v3
	s_and_b32 s0, s0, vcc_lo
	v_cvt_f16_f32_e32 v0, v1
	v_subrev_nc_u32_e32 v17, s2, v20
	v_cvt_f16_f32_e32 v1, v2
	v_cvt_f16_f32_e32 v2, v14
	v_cvt_f16_f32_e32 v3, v3
	v_cndmask_b32_e64 v14, 0x80000000, 0, s0
	v_pack_b32_f16 v6, v6, v4
	v_lshl_add_u32 v4, v20, 1, v16
	v_pack_b32_f16 v0, v0, v1
	v_pack_b32_f16 v1, v3, v2
	v_lshl_add_u32 v2, v17, 1, v14
	buffer_store_dwordx2 v[7:8], v13, s[4:7], 0 offen
	buffer_store_dwordx2 v[9:10], v15, s[4:7], 0 offen
	;; [unrolled: 1-line block ×5, first 2 shown]
	s_endpgm
	.section	.rodata,"a",@progbits
	.p2align	6, 0x0
	.amdhsa_kernel _ZN2ck16tensor_operation6device12_GLOBAL__N_137kernel_grouped_conv_fwd_dl_multiple_dINS_32GridwiseGemmDlMultipleD_km_kn_mnILi256EDF16_fNS_5TupleIJDF16_EEEDF16_NS0_12element_wise11PassThroughES8_NS7_7AddReluELNS_25InMemoryDataOperationEnumE0ENS_16TensorDescriptorINS5_IJNS_5EmbedINS5_IJiiiiEEESD_Lb0EEENS_11PassThroughIiEENS_3PadIiiiLb0EEESI_SG_SG_NSC_INS5_IJiiEEESJ_Lb0EEESK_SG_NS_23Merge_v2_magic_divisionINS5_IJiiiEEEEESN_NS_8RightPadIiiLb0EEESP_NS_7UnMergeISJ_Lb0EEESG_EEENS5_IJNS_8SequenceIJLi0EEEENST_IJLi1EEEENST_IJLi2EEEENST_IJLi3EEEENST_IJLi4EEEENST_IJLi5EEEENST_IJLi6EEEENST_IJLi7EEEENST_IJLi8EEEENST_IJLi9ELi11ELi13EEEENST_IJLi10ELi12ELi14EEEENST_IJLi15EEEENST_IJLi16EEEENST_IJLi18EEEENST_IJLi17EEEEEEENS5_IJNST_IJLi1ELi2ELi3ELi4EEEESZ_S10_S11_S12_NST_IJLi9EEEENST_IJLi10ELi11EEEENST_IJLi12ELi13EEEENST_IJLi14EEEES15_S16_S18_S17_NST_IJLi19ELi20EEEENST_IJLi21EEEEEEENST_IJLi19ELi21ELi20EEEElEENSB_INS5_IJSR_SP_SP_SR_SG_EEENS5_IJSU_SV_SW_SY_SX_EEENS5_IJNST_IJLi1ELi2EEEESX_SY_NST_IJLi5ELi6EEEES11_EEENST_IJLi5ELi7ELi6EEEElEENSB_INS5_IJSK_SP_SP_EEENS5_IJSU_SV_SW_EEENS5_IJS1M_SX_SY_EEENST_IJLi3ELi4EEEElEELi128ELi128ELi16ELi2ELi4ELi4ELi1ENST_IJLi8ELi2EEEES1W_NST_IJLi8ELi1ELi1ELi2EEEENST_IJLi2ELi1ELi128ELi1EEEENST_IJLi1ELi2ELi0ELi3EEEES1Z_NST_IJLi4ELi1ELi1ELi2EEEES1Z_NST_IJLi1ELi1ELi1ELi2EEEES1X_S1Y_S1Z_S1Z_S20_S1Z_S21_NST_IJLi0ELi1ELi2ELi3ELi4ELi5EEEELi5ELi4EEEDF16_NS5_IJPKDF16_EEEDF16_S8_S8_S9_NSB_INS5_IJSE_SG_SI_SI_SG_SG_SK_SK_SG_SN_SN_SP_SP_SR_SG_SG_NSQ_INS5_IJiNS_17integral_constantIiLi128EEEEEELb0EEENSF_INS27_IiLi2EEEEEEEENS5_IJSU_SV_SW_SX_SY_SZ_S10_S11_S12_S13_S14_S15_S16_S17_S18_NST_IJLi19EEEES1G_NST_IJLi20EEEEEEENS5_IJS1A_SZ_S10_S11_S12_S1B_S1C_S1D_S1E_S15_S16_S18_S17_S1F_S1G_NST_IJLi22EEEENST_IJLi23ELi24EEEENST_IJLi25EEEEEEENST_IJLi22ELi23ELi24ELi25EEEElEENSB_INS5_IJSR_SP_SP_SR_SG_SG_S2A_S2C_EEENS5_IJSU_SV_SW_SY_SX_SZ_S11_S10_EEENS5_IJS1M_SX_SY_S1N_S11_S12_NST_IJLi9ELi10EEEENST_IJLi11EEEEEEENST_IJLi8ELi9ELi10ELi11EEEElEENS5_IJNSB_INS5_IJSK_SP_SP_NSQ_INS5_IJiS2B_NS27_IiLi64EEEEEELb0EEES2W_EEENS5_IJSU_SV_SW_SX_SY_EEENS5_IJS1M_SX_SY_NST_IJLi5ELi6ELi7EEEENST_IJLi8ELi9ELi10EEEEEEENST_IJLi5ELi6ELi7ELi8ELi9ELi10EEEElEEEEES33_NS_31BlockToCTileMap_M00_N00_M01_N01ILi128ELi128ES1V_Lb0EEENS1_30ComputePtrOffsetOfStridedBatchILi1ELi1ELi1EvEELb1ELb0EEEvPKT0_S3B_T1_PT2_T3_T4_T5_iT6_T7_T8_T9_T10_T11_
		.amdhsa_group_segment_fixed_size 32768
		.amdhsa_private_segment_fixed_size 0
		.amdhsa_kernarg_size 968
		.amdhsa_user_sgpr_count 6
		.amdhsa_user_sgpr_private_segment_buffer 1
		.amdhsa_user_sgpr_dispatch_ptr 0
		.amdhsa_user_sgpr_queue_ptr 0
		.amdhsa_user_sgpr_kernarg_segment_ptr 1
		.amdhsa_user_sgpr_dispatch_id 0
		.amdhsa_user_sgpr_flat_scratch_init 0
		.amdhsa_user_sgpr_private_segment_size 0
		.amdhsa_wavefront_size32 1
		.amdhsa_uses_dynamic_stack 0
		.amdhsa_system_sgpr_private_segment_wavefront_offset 0
		.amdhsa_system_sgpr_workgroup_id_x 1
		.amdhsa_system_sgpr_workgroup_id_y 0
		.amdhsa_system_sgpr_workgroup_id_z 0
		.amdhsa_system_sgpr_workgroup_info 0
		.amdhsa_system_vgpr_workitem_id 0
		.amdhsa_next_free_vgpr 127
		.amdhsa_next_free_sgpr 69
		.amdhsa_reserve_vcc 1
		.amdhsa_reserve_flat_scratch 0
		.amdhsa_float_round_mode_32 0
		.amdhsa_float_round_mode_16_64 0
		.amdhsa_float_denorm_mode_32 3
		.amdhsa_float_denorm_mode_16_64 3
		.amdhsa_dx10_clamp 1
		.amdhsa_ieee_mode 1
		.amdhsa_fp16_overflow 0
		.amdhsa_workgroup_processor_mode 1
		.amdhsa_memory_ordered 1
		.amdhsa_forward_progress 1
		.amdhsa_shared_vgpr_count 0
		.amdhsa_exception_fp_ieee_invalid_op 0
		.amdhsa_exception_fp_denorm_src 0
		.amdhsa_exception_fp_ieee_div_zero 0
		.amdhsa_exception_fp_ieee_overflow 0
		.amdhsa_exception_fp_ieee_underflow 0
		.amdhsa_exception_fp_ieee_inexact 0
		.amdhsa_exception_int_div_zero 0
	.end_amdhsa_kernel
	.section	.text._ZN2ck16tensor_operation6device12_GLOBAL__N_137kernel_grouped_conv_fwd_dl_multiple_dINS_32GridwiseGemmDlMultipleD_km_kn_mnILi256EDF16_fNS_5TupleIJDF16_EEEDF16_NS0_12element_wise11PassThroughES8_NS7_7AddReluELNS_25InMemoryDataOperationEnumE0ENS_16TensorDescriptorINS5_IJNS_5EmbedINS5_IJiiiiEEESD_Lb0EEENS_11PassThroughIiEENS_3PadIiiiLb0EEESI_SG_SG_NSC_INS5_IJiiEEESJ_Lb0EEESK_SG_NS_23Merge_v2_magic_divisionINS5_IJiiiEEEEESN_NS_8RightPadIiiLb0EEESP_NS_7UnMergeISJ_Lb0EEESG_EEENS5_IJNS_8SequenceIJLi0EEEENST_IJLi1EEEENST_IJLi2EEEENST_IJLi3EEEENST_IJLi4EEEENST_IJLi5EEEENST_IJLi6EEEENST_IJLi7EEEENST_IJLi8EEEENST_IJLi9ELi11ELi13EEEENST_IJLi10ELi12ELi14EEEENST_IJLi15EEEENST_IJLi16EEEENST_IJLi18EEEENST_IJLi17EEEEEEENS5_IJNST_IJLi1ELi2ELi3ELi4EEEESZ_S10_S11_S12_NST_IJLi9EEEENST_IJLi10ELi11EEEENST_IJLi12ELi13EEEENST_IJLi14EEEES15_S16_S18_S17_NST_IJLi19ELi20EEEENST_IJLi21EEEEEEENST_IJLi19ELi21ELi20EEEElEENSB_INS5_IJSR_SP_SP_SR_SG_EEENS5_IJSU_SV_SW_SY_SX_EEENS5_IJNST_IJLi1ELi2EEEESX_SY_NST_IJLi5ELi6EEEES11_EEENST_IJLi5ELi7ELi6EEEElEENSB_INS5_IJSK_SP_SP_EEENS5_IJSU_SV_SW_EEENS5_IJS1M_SX_SY_EEENST_IJLi3ELi4EEEElEELi128ELi128ELi16ELi2ELi4ELi4ELi1ENST_IJLi8ELi2EEEES1W_NST_IJLi8ELi1ELi1ELi2EEEENST_IJLi2ELi1ELi128ELi1EEEENST_IJLi1ELi2ELi0ELi3EEEES1Z_NST_IJLi4ELi1ELi1ELi2EEEES1Z_NST_IJLi1ELi1ELi1ELi2EEEES1X_S1Y_S1Z_S1Z_S20_S1Z_S21_NST_IJLi0ELi1ELi2ELi3ELi4ELi5EEEELi5ELi4EEEDF16_NS5_IJPKDF16_EEEDF16_S8_S8_S9_NSB_INS5_IJSE_SG_SI_SI_SG_SG_SK_SK_SG_SN_SN_SP_SP_SR_SG_SG_NSQ_INS5_IJiNS_17integral_constantIiLi128EEEEEELb0EEENSF_INS27_IiLi2EEEEEEEENS5_IJSU_SV_SW_SX_SY_SZ_S10_S11_S12_S13_S14_S15_S16_S17_S18_NST_IJLi19EEEES1G_NST_IJLi20EEEEEEENS5_IJS1A_SZ_S10_S11_S12_S1B_S1C_S1D_S1E_S15_S16_S18_S17_S1F_S1G_NST_IJLi22EEEENST_IJLi23ELi24EEEENST_IJLi25EEEEEEENST_IJLi22ELi23ELi24ELi25EEEElEENSB_INS5_IJSR_SP_SP_SR_SG_SG_S2A_S2C_EEENS5_IJSU_SV_SW_SY_SX_SZ_S11_S10_EEENS5_IJS1M_SX_SY_S1N_S11_S12_NST_IJLi9ELi10EEEENST_IJLi11EEEEEEENST_IJLi8ELi9ELi10ELi11EEEElEENS5_IJNSB_INS5_IJSK_SP_SP_NSQ_INS5_IJiS2B_NS27_IiLi64EEEEEELb0EEES2W_EEENS5_IJSU_SV_SW_SX_SY_EEENS5_IJS1M_SX_SY_NST_IJLi5ELi6ELi7EEEENST_IJLi8ELi9ELi10EEEEEEENST_IJLi5ELi6ELi7ELi8ELi9ELi10EEEElEEEEES33_NS_31BlockToCTileMap_M00_N00_M01_N01ILi128ELi128ES1V_Lb0EEENS1_30ComputePtrOffsetOfStridedBatchILi1ELi1ELi1EvEELb1ELb0EEEvPKT0_S3B_T1_PT2_T3_T4_T5_iT6_T7_T8_T9_T10_T11_,"axG",@progbits,_ZN2ck16tensor_operation6device12_GLOBAL__N_137kernel_grouped_conv_fwd_dl_multiple_dINS_32GridwiseGemmDlMultipleD_km_kn_mnILi256EDF16_fNS_5TupleIJDF16_EEEDF16_NS0_12element_wise11PassThroughES8_NS7_7AddReluELNS_25InMemoryDataOperationEnumE0ENS_16TensorDescriptorINS5_IJNS_5EmbedINS5_IJiiiiEEESD_Lb0EEENS_11PassThroughIiEENS_3PadIiiiLb0EEESI_SG_SG_NSC_INS5_IJiiEEESJ_Lb0EEESK_SG_NS_23Merge_v2_magic_divisionINS5_IJiiiEEEEESN_NS_8RightPadIiiLb0EEESP_NS_7UnMergeISJ_Lb0EEESG_EEENS5_IJNS_8SequenceIJLi0EEEENST_IJLi1EEEENST_IJLi2EEEENST_IJLi3EEEENST_IJLi4EEEENST_IJLi5EEEENST_IJLi6EEEENST_IJLi7EEEENST_IJLi8EEEENST_IJLi9ELi11ELi13EEEENST_IJLi10ELi12ELi14EEEENST_IJLi15EEEENST_IJLi16EEEENST_IJLi18EEEENST_IJLi17EEEEEEENS5_IJNST_IJLi1ELi2ELi3ELi4EEEESZ_S10_S11_S12_NST_IJLi9EEEENST_IJLi10ELi11EEEENST_IJLi12ELi13EEEENST_IJLi14EEEES15_S16_S18_S17_NST_IJLi19ELi20EEEENST_IJLi21EEEEEEENST_IJLi19ELi21ELi20EEEElEENSB_INS5_IJSR_SP_SP_SR_SG_EEENS5_IJSU_SV_SW_SY_SX_EEENS5_IJNST_IJLi1ELi2EEEESX_SY_NST_IJLi5ELi6EEEES11_EEENST_IJLi5ELi7ELi6EEEElEENSB_INS5_IJSK_SP_SP_EEENS5_IJSU_SV_SW_EEENS5_IJS1M_SX_SY_EEENST_IJLi3ELi4EEEElEELi128ELi128ELi16ELi2ELi4ELi4ELi1ENST_IJLi8ELi2EEEES1W_NST_IJLi8ELi1ELi1ELi2EEEENST_IJLi2ELi1ELi128ELi1EEEENST_IJLi1ELi2ELi0ELi3EEEES1Z_NST_IJLi4ELi1ELi1ELi2EEEES1Z_NST_IJLi1ELi1ELi1ELi2EEEES1X_S1Y_S1Z_S1Z_S20_S1Z_S21_NST_IJLi0ELi1ELi2ELi3ELi4ELi5EEEELi5ELi4EEEDF16_NS5_IJPKDF16_EEEDF16_S8_S8_S9_NSB_INS5_IJSE_SG_SI_SI_SG_SG_SK_SK_SG_SN_SN_SP_SP_SR_SG_SG_NSQ_INS5_IJiNS_17integral_constantIiLi128EEEEEELb0EEENSF_INS27_IiLi2EEEEEEEENS5_IJSU_SV_SW_SX_SY_SZ_S10_S11_S12_S13_S14_S15_S16_S17_S18_NST_IJLi19EEEES1G_NST_IJLi20EEEEEEENS5_IJS1A_SZ_S10_S11_S12_S1B_S1C_S1D_S1E_S15_S16_S18_S17_S1F_S1G_NST_IJLi22EEEENST_IJLi23ELi24EEEENST_IJLi25EEEEEEENST_IJLi22ELi23ELi24ELi25EEEElEENSB_INS5_IJSR_SP_SP_SR_SG_SG_S2A_S2C_EEENS5_IJSU_SV_SW_SY_SX_SZ_S11_S10_EEENS5_IJS1M_SX_SY_S1N_S11_S12_NST_IJLi9ELi10EEEENST_IJLi11EEEEEEENST_IJLi8ELi9ELi10ELi11EEEElEENS5_IJNSB_INS5_IJSK_SP_SP_NSQ_INS5_IJiS2B_NS27_IiLi64EEEEEELb0EEES2W_EEENS5_IJSU_SV_SW_SX_SY_EEENS5_IJS1M_SX_SY_NST_IJLi5ELi6ELi7EEEENST_IJLi8ELi9ELi10EEEEEEENST_IJLi5ELi6ELi7ELi8ELi9ELi10EEEElEEEEES33_NS_31BlockToCTileMap_M00_N00_M01_N01ILi128ELi128ES1V_Lb0EEENS1_30ComputePtrOffsetOfStridedBatchILi1ELi1ELi1EvEELb1ELb0EEEvPKT0_S3B_T1_PT2_T3_T4_T5_iT6_T7_T8_T9_T10_T11_,comdat
.Lfunc_end6:
	.size	_ZN2ck16tensor_operation6device12_GLOBAL__N_137kernel_grouped_conv_fwd_dl_multiple_dINS_32GridwiseGemmDlMultipleD_km_kn_mnILi256EDF16_fNS_5TupleIJDF16_EEEDF16_NS0_12element_wise11PassThroughES8_NS7_7AddReluELNS_25InMemoryDataOperationEnumE0ENS_16TensorDescriptorINS5_IJNS_5EmbedINS5_IJiiiiEEESD_Lb0EEENS_11PassThroughIiEENS_3PadIiiiLb0EEESI_SG_SG_NSC_INS5_IJiiEEESJ_Lb0EEESK_SG_NS_23Merge_v2_magic_divisionINS5_IJiiiEEEEESN_NS_8RightPadIiiLb0EEESP_NS_7UnMergeISJ_Lb0EEESG_EEENS5_IJNS_8SequenceIJLi0EEEENST_IJLi1EEEENST_IJLi2EEEENST_IJLi3EEEENST_IJLi4EEEENST_IJLi5EEEENST_IJLi6EEEENST_IJLi7EEEENST_IJLi8EEEENST_IJLi9ELi11ELi13EEEENST_IJLi10ELi12ELi14EEEENST_IJLi15EEEENST_IJLi16EEEENST_IJLi18EEEENST_IJLi17EEEEEEENS5_IJNST_IJLi1ELi2ELi3ELi4EEEESZ_S10_S11_S12_NST_IJLi9EEEENST_IJLi10ELi11EEEENST_IJLi12ELi13EEEENST_IJLi14EEEES15_S16_S18_S17_NST_IJLi19ELi20EEEENST_IJLi21EEEEEEENST_IJLi19ELi21ELi20EEEElEENSB_INS5_IJSR_SP_SP_SR_SG_EEENS5_IJSU_SV_SW_SY_SX_EEENS5_IJNST_IJLi1ELi2EEEESX_SY_NST_IJLi5ELi6EEEES11_EEENST_IJLi5ELi7ELi6EEEElEENSB_INS5_IJSK_SP_SP_EEENS5_IJSU_SV_SW_EEENS5_IJS1M_SX_SY_EEENST_IJLi3ELi4EEEElEELi128ELi128ELi16ELi2ELi4ELi4ELi1ENST_IJLi8ELi2EEEES1W_NST_IJLi8ELi1ELi1ELi2EEEENST_IJLi2ELi1ELi128ELi1EEEENST_IJLi1ELi2ELi0ELi3EEEES1Z_NST_IJLi4ELi1ELi1ELi2EEEES1Z_NST_IJLi1ELi1ELi1ELi2EEEES1X_S1Y_S1Z_S1Z_S20_S1Z_S21_NST_IJLi0ELi1ELi2ELi3ELi4ELi5EEEELi5ELi4EEEDF16_NS5_IJPKDF16_EEEDF16_S8_S8_S9_NSB_INS5_IJSE_SG_SI_SI_SG_SG_SK_SK_SG_SN_SN_SP_SP_SR_SG_SG_NSQ_INS5_IJiNS_17integral_constantIiLi128EEEEEELb0EEENSF_INS27_IiLi2EEEEEEEENS5_IJSU_SV_SW_SX_SY_SZ_S10_S11_S12_S13_S14_S15_S16_S17_S18_NST_IJLi19EEEES1G_NST_IJLi20EEEEEEENS5_IJS1A_SZ_S10_S11_S12_S1B_S1C_S1D_S1E_S15_S16_S18_S17_S1F_S1G_NST_IJLi22EEEENST_IJLi23ELi24EEEENST_IJLi25EEEEEEENST_IJLi22ELi23ELi24ELi25EEEElEENSB_INS5_IJSR_SP_SP_SR_SG_SG_S2A_S2C_EEENS5_IJSU_SV_SW_SY_SX_SZ_S11_S10_EEENS5_IJS1M_SX_SY_S1N_S11_S12_NST_IJLi9ELi10EEEENST_IJLi11EEEEEEENST_IJLi8ELi9ELi10ELi11EEEElEENS5_IJNSB_INS5_IJSK_SP_SP_NSQ_INS5_IJiS2B_NS27_IiLi64EEEEEELb0EEES2W_EEENS5_IJSU_SV_SW_SX_SY_EEENS5_IJS1M_SX_SY_NST_IJLi5ELi6ELi7EEEENST_IJLi8ELi9ELi10EEEEEEENST_IJLi5ELi6ELi7ELi8ELi9ELi10EEEElEEEEES33_NS_31BlockToCTileMap_M00_N00_M01_N01ILi128ELi128ES1V_Lb0EEENS1_30ComputePtrOffsetOfStridedBatchILi1ELi1ELi1EvEELb1ELb0EEEvPKT0_S3B_T1_PT2_T3_T4_T5_iT6_T7_T8_T9_T10_T11_, .Lfunc_end6-_ZN2ck16tensor_operation6device12_GLOBAL__N_137kernel_grouped_conv_fwd_dl_multiple_dINS_32GridwiseGemmDlMultipleD_km_kn_mnILi256EDF16_fNS_5TupleIJDF16_EEEDF16_NS0_12element_wise11PassThroughES8_NS7_7AddReluELNS_25InMemoryDataOperationEnumE0ENS_16TensorDescriptorINS5_IJNS_5EmbedINS5_IJiiiiEEESD_Lb0EEENS_11PassThroughIiEENS_3PadIiiiLb0EEESI_SG_SG_NSC_INS5_IJiiEEESJ_Lb0EEESK_SG_NS_23Merge_v2_magic_divisionINS5_IJiiiEEEEESN_NS_8RightPadIiiLb0EEESP_NS_7UnMergeISJ_Lb0EEESG_EEENS5_IJNS_8SequenceIJLi0EEEENST_IJLi1EEEENST_IJLi2EEEENST_IJLi3EEEENST_IJLi4EEEENST_IJLi5EEEENST_IJLi6EEEENST_IJLi7EEEENST_IJLi8EEEENST_IJLi9ELi11ELi13EEEENST_IJLi10ELi12ELi14EEEENST_IJLi15EEEENST_IJLi16EEEENST_IJLi18EEEENST_IJLi17EEEEEEENS5_IJNST_IJLi1ELi2ELi3ELi4EEEESZ_S10_S11_S12_NST_IJLi9EEEENST_IJLi10ELi11EEEENST_IJLi12ELi13EEEENST_IJLi14EEEES15_S16_S18_S17_NST_IJLi19ELi20EEEENST_IJLi21EEEEEEENST_IJLi19ELi21ELi20EEEElEENSB_INS5_IJSR_SP_SP_SR_SG_EEENS5_IJSU_SV_SW_SY_SX_EEENS5_IJNST_IJLi1ELi2EEEESX_SY_NST_IJLi5ELi6EEEES11_EEENST_IJLi5ELi7ELi6EEEElEENSB_INS5_IJSK_SP_SP_EEENS5_IJSU_SV_SW_EEENS5_IJS1M_SX_SY_EEENST_IJLi3ELi4EEEElEELi128ELi128ELi16ELi2ELi4ELi4ELi1ENST_IJLi8ELi2EEEES1W_NST_IJLi8ELi1ELi1ELi2EEEENST_IJLi2ELi1ELi128ELi1EEEENST_IJLi1ELi2ELi0ELi3EEEES1Z_NST_IJLi4ELi1ELi1ELi2EEEES1Z_NST_IJLi1ELi1ELi1ELi2EEEES1X_S1Y_S1Z_S1Z_S20_S1Z_S21_NST_IJLi0ELi1ELi2ELi3ELi4ELi5EEEELi5ELi4EEEDF16_NS5_IJPKDF16_EEEDF16_S8_S8_S9_NSB_INS5_IJSE_SG_SI_SI_SG_SG_SK_SK_SG_SN_SN_SP_SP_SR_SG_SG_NSQ_INS5_IJiNS_17integral_constantIiLi128EEEEEELb0EEENSF_INS27_IiLi2EEEEEEEENS5_IJSU_SV_SW_SX_SY_SZ_S10_S11_S12_S13_S14_S15_S16_S17_S18_NST_IJLi19EEEES1G_NST_IJLi20EEEEEEENS5_IJS1A_SZ_S10_S11_S12_S1B_S1C_S1D_S1E_S15_S16_S18_S17_S1F_S1G_NST_IJLi22EEEENST_IJLi23ELi24EEEENST_IJLi25EEEEEEENST_IJLi22ELi23ELi24ELi25EEEElEENSB_INS5_IJSR_SP_SP_SR_SG_SG_S2A_S2C_EEENS5_IJSU_SV_SW_SY_SX_SZ_S11_S10_EEENS5_IJS1M_SX_SY_S1N_S11_S12_NST_IJLi9ELi10EEEENST_IJLi11EEEEEEENST_IJLi8ELi9ELi10ELi11EEEElEENS5_IJNSB_INS5_IJSK_SP_SP_NSQ_INS5_IJiS2B_NS27_IiLi64EEEEEELb0EEES2W_EEENS5_IJSU_SV_SW_SX_SY_EEENS5_IJS1M_SX_SY_NST_IJLi5ELi6ELi7EEEENST_IJLi8ELi9ELi10EEEEEEENST_IJLi5ELi6ELi7ELi8ELi9ELi10EEEElEEEEES33_NS_31BlockToCTileMap_M00_N00_M01_N01ILi128ELi128ES1V_Lb0EEENS1_30ComputePtrOffsetOfStridedBatchILi1ELi1ELi1EvEELb1ELb0EEEvPKT0_S3B_T1_PT2_T3_T4_T5_iT6_T7_T8_T9_T10_T11_
                                        ; -- End function
	.set _ZN2ck16tensor_operation6device12_GLOBAL__N_137kernel_grouped_conv_fwd_dl_multiple_dINS_32GridwiseGemmDlMultipleD_km_kn_mnILi256EDF16_fNS_5TupleIJDF16_EEEDF16_NS0_12element_wise11PassThroughES8_NS7_7AddReluELNS_25InMemoryDataOperationEnumE0ENS_16TensorDescriptorINS5_IJNS_5EmbedINS5_IJiiiiEEESD_Lb0EEENS_11PassThroughIiEENS_3PadIiiiLb0EEESI_SG_SG_NSC_INS5_IJiiEEESJ_Lb0EEESK_SG_NS_23Merge_v2_magic_divisionINS5_IJiiiEEEEESN_NS_8RightPadIiiLb0EEESP_NS_7UnMergeISJ_Lb0EEESG_EEENS5_IJNS_8SequenceIJLi0EEEENST_IJLi1EEEENST_IJLi2EEEENST_IJLi3EEEENST_IJLi4EEEENST_IJLi5EEEENST_IJLi6EEEENST_IJLi7EEEENST_IJLi8EEEENST_IJLi9ELi11ELi13EEEENST_IJLi10ELi12ELi14EEEENST_IJLi15EEEENST_IJLi16EEEENST_IJLi18EEEENST_IJLi17EEEEEEENS5_IJNST_IJLi1ELi2ELi3ELi4EEEESZ_S10_S11_S12_NST_IJLi9EEEENST_IJLi10ELi11EEEENST_IJLi12ELi13EEEENST_IJLi14EEEES15_S16_S18_S17_NST_IJLi19ELi20EEEENST_IJLi21EEEEEEENST_IJLi19ELi21ELi20EEEElEENSB_INS5_IJSR_SP_SP_SR_SG_EEENS5_IJSU_SV_SW_SY_SX_EEENS5_IJNST_IJLi1ELi2EEEESX_SY_NST_IJLi5ELi6EEEES11_EEENST_IJLi5ELi7ELi6EEEElEENSB_INS5_IJSK_SP_SP_EEENS5_IJSU_SV_SW_EEENS5_IJS1M_SX_SY_EEENST_IJLi3ELi4EEEElEELi128ELi128ELi16ELi2ELi4ELi4ELi1ENST_IJLi8ELi2EEEES1W_NST_IJLi8ELi1ELi1ELi2EEEENST_IJLi2ELi1ELi128ELi1EEEENST_IJLi1ELi2ELi0ELi3EEEES1Z_NST_IJLi4ELi1ELi1ELi2EEEES1Z_NST_IJLi1ELi1ELi1ELi2EEEES1X_S1Y_S1Z_S1Z_S20_S1Z_S21_NST_IJLi0ELi1ELi2ELi3ELi4ELi5EEEELi5ELi4EEEDF16_NS5_IJPKDF16_EEEDF16_S8_S8_S9_NSB_INS5_IJSE_SG_SI_SI_SG_SG_SK_SK_SG_SN_SN_SP_SP_SR_SG_SG_NSQ_INS5_IJiNS_17integral_constantIiLi128EEEEEELb0EEENSF_INS27_IiLi2EEEEEEEENS5_IJSU_SV_SW_SX_SY_SZ_S10_S11_S12_S13_S14_S15_S16_S17_S18_NST_IJLi19EEEES1G_NST_IJLi20EEEEEEENS5_IJS1A_SZ_S10_S11_S12_S1B_S1C_S1D_S1E_S15_S16_S18_S17_S1F_S1G_NST_IJLi22EEEENST_IJLi23ELi24EEEENST_IJLi25EEEEEEENST_IJLi22ELi23ELi24ELi25EEEElEENSB_INS5_IJSR_SP_SP_SR_SG_SG_S2A_S2C_EEENS5_IJSU_SV_SW_SY_SX_SZ_S11_S10_EEENS5_IJS1M_SX_SY_S1N_S11_S12_NST_IJLi9ELi10EEEENST_IJLi11EEEEEEENST_IJLi8ELi9ELi10ELi11EEEElEENS5_IJNSB_INS5_IJSK_SP_SP_NSQ_INS5_IJiS2B_NS27_IiLi64EEEEEELb0EEES2W_EEENS5_IJSU_SV_SW_SX_SY_EEENS5_IJS1M_SX_SY_NST_IJLi5ELi6ELi7EEEENST_IJLi8ELi9ELi10EEEEEEENST_IJLi5ELi6ELi7ELi8ELi9ELi10EEEElEEEEES33_NS_31BlockToCTileMap_M00_N00_M01_N01ILi128ELi128ES1V_Lb0EEENS1_30ComputePtrOffsetOfStridedBatchILi1ELi1ELi1EvEELb1ELb0EEEvPKT0_S3B_T1_PT2_T3_T4_T5_iT6_T7_T8_T9_T10_T11_.num_vgpr, 127
	.set _ZN2ck16tensor_operation6device12_GLOBAL__N_137kernel_grouped_conv_fwd_dl_multiple_dINS_32GridwiseGemmDlMultipleD_km_kn_mnILi256EDF16_fNS_5TupleIJDF16_EEEDF16_NS0_12element_wise11PassThroughES8_NS7_7AddReluELNS_25InMemoryDataOperationEnumE0ENS_16TensorDescriptorINS5_IJNS_5EmbedINS5_IJiiiiEEESD_Lb0EEENS_11PassThroughIiEENS_3PadIiiiLb0EEESI_SG_SG_NSC_INS5_IJiiEEESJ_Lb0EEESK_SG_NS_23Merge_v2_magic_divisionINS5_IJiiiEEEEESN_NS_8RightPadIiiLb0EEESP_NS_7UnMergeISJ_Lb0EEESG_EEENS5_IJNS_8SequenceIJLi0EEEENST_IJLi1EEEENST_IJLi2EEEENST_IJLi3EEEENST_IJLi4EEEENST_IJLi5EEEENST_IJLi6EEEENST_IJLi7EEEENST_IJLi8EEEENST_IJLi9ELi11ELi13EEEENST_IJLi10ELi12ELi14EEEENST_IJLi15EEEENST_IJLi16EEEENST_IJLi18EEEENST_IJLi17EEEEEEENS5_IJNST_IJLi1ELi2ELi3ELi4EEEESZ_S10_S11_S12_NST_IJLi9EEEENST_IJLi10ELi11EEEENST_IJLi12ELi13EEEENST_IJLi14EEEES15_S16_S18_S17_NST_IJLi19ELi20EEEENST_IJLi21EEEEEEENST_IJLi19ELi21ELi20EEEElEENSB_INS5_IJSR_SP_SP_SR_SG_EEENS5_IJSU_SV_SW_SY_SX_EEENS5_IJNST_IJLi1ELi2EEEESX_SY_NST_IJLi5ELi6EEEES11_EEENST_IJLi5ELi7ELi6EEEElEENSB_INS5_IJSK_SP_SP_EEENS5_IJSU_SV_SW_EEENS5_IJS1M_SX_SY_EEENST_IJLi3ELi4EEEElEELi128ELi128ELi16ELi2ELi4ELi4ELi1ENST_IJLi8ELi2EEEES1W_NST_IJLi8ELi1ELi1ELi2EEEENST_IJLi2ELi1ELi128ELi1EEEENST_IJLi1ELi2ELi0ELi3EEEES1Z_NST_IJLi4ELi1ELi1ELi2EEEES1Z_NST_IJLi1ELi1ELi1ELi2EEEES1X_S1Y_S1Z_S1Z_S20_S1Z_S21_NST_IJLi0ELi1ELi2ELi3ELi4ELi5EEEELi5ELi4EEEDF16_NS5_IJPKDF16_EEEDF16_S8_S8_S9_NSB_INS5_IJSE_SG_SI_SI_SG_SG_SK_SK_SG_SN_SN_SP_SP_SR_SG_SG_NSQ_INS5_IJiNS_17integral_constantIiLi128EEEEEELb0EEENSF_INS27_IiLi2EEEEEEEENS5_IJSU_SV_SW_SX_SY_SZ_S10_S11_S12_S13_S14_S15_S16_S17_S18_NST_IJLi19EEEES1G_NST_IJLi20EEEEEEENS5_IJS1A_SZ_S10_S11_S12_S1B_S1C_S1D_S1E_S15_S16_S18_S17_S1F_S1G_NST_IJLi22EEEENST_IJLi23ELi24EEEENST_IJLi25EEEEEEENST_IJLi22ELi23ELi24ELi25EEEElEENSB_INS5_IJSR_SP_SP_SR_SG_SG_S2A_S2C_EEENS5_IJSU_SV_SW_SY_SX_SZ_S11_S10_EEENS5_IJS1M_SX_SY_S1N_S11_S12_NST_IJLi9ELi10EEEENST_IJLi11EEEEEEENST_IJLi8ELi9ELi10ELi11EEEElEENS5_IJNSB_INS5_IJSK_SP_SP_NSQ_INS5_IJiS2B_NS27_IiLi64EEEEEELb0EEES2W_EEENS5_IJSU_SV_SW_SX_SY_EEENS5_IJS1M_SX_SY_NST_IJLi5ELi6ELi7EEEENST_IJLi8ELi9ELi10EEEEEEENST_IJLi5ELi6ELi7ELi8ELi9ELi10EEEElEEEEES33_NS_31BlockToCTileMap_M00_N00_M01_N01ILi128ELi128ES1V_Lb0EEENS1_30ComputePtrOffsetOfStridedBatchILi1ELi1ELi1EvEELb1ELb0EEEvPKT0_S3B_T1_PT2_T3_T4_T5_iT6_T7_T8_T9_T10_T11_.num_agpr, 0
	.set _ZN2ck16tensor_operation6device12_GLOBAL__N_137kernel_grouped_conv_fwd_dl_multiple_dINS_32GridwiseGemmDlMultipleD_km_kn_mnILi256EDF16_fNS_5TupleIJDF16_EEEDF16_NS0_12element_wise11PassThroughES8_NS7_7AddReluELNS_25InMemoryDataOperationEnumE0ENS_16TensorDescriptorINS5_IJNS_5EmbedINS5_IJiiiiEEESD_Lb0EEENS_11PassThroughIiEENS_3PadIiiiLb0EEESI_SG_SG_NSC_INS5_IJiiEEESJ_Lb0EEESK_SG_NS_23Merge_v2_magic_divisionINS5_IJiiiEEEEESN_NS_8RightPadIiiLb0EEESP_NS_7UnMergeISJ_Lb0EEESG_EEENS5_IJNS_8SequenceIJLi0EEEENST_IJLi1EEEENST_IJLi2EEEENST_IJLi3EEEENST_IJLi4EEEENST_IJLi5EEEENST_IJLi6EEEENST_IJLi7EEEENST_IJLi8EEEENST_IJLi9ELi11ELi13EEEENST_IJLi10ELi12ELi14EEEENST_IJLi15EEEENST_IJLi16EEEENST_IJLi18EEEENST_IJLi17EEEEEEENS5_IJNST_IJLi1ELi2ELi3ELi4EEEESZ_S10_S11_S12_NST_IJLi9EEEENST_IJLi10ELi11EEEENST_IJLi12ELi13EEEENST_IJLi14EEEES15_S16_S18_S17_NST_IJLi19ELi20EEEENST_IJLi21EEEEEEENST_IJLi19ELi21ELi20EEEElEENSB_INS5_IJSR_SP_SP_SR_SG_EEENS5_IJSU_SV_SW_SY_SX_EEENS5_IJNST_IJLi1ELi2EEEESX_SY_NST_IJLi5ELi6EEEES11_EEENST_IJLi5ELi7ELi6EEEElEENSB_INS5_IJSK_SP_SP_EEENS5_IJSU_SV_SW_EEENS5_IJS1M_SX_SY_EEENST_IJLi3ELi4EEEElEELi128ELi128ELi16ELi2ELi4ELi4ELi1ENST_IJLi8ELi2EEEES1W_NST_IJLi8ELi1ELi1ELi2EEEENST_IJLi2ELi1ELi128ELi1EEEENST_IJLi1ELi2ELi0ELi3EEEES1Z_NST_IJLi4ELi1ELi1ELi2EEEES1Z_NST_IJLi1ELi1ELi1ELi2EEEES1X_S1Y_S1Z_S1Z_S20_S1Z_S21_NST_IJLi0ELi1ELi2ELi3ELi4ELi5EEEELi5ELi4EEEDF16_NS5_IJPKDF16_EEEDF16_S8_S8_S9_NSB_INS5_IJSE_SG_SI_SI_SG_SG_SK_SK_SG_SN_SN_SP_SP_SR_SG_SG_NSQ_INS5_IJiNS_17integral_constantIiLi128EEEEEELb0EEENSF_INS27_IiLi2EEEEEEEENS5_IJSU_SV_SW_SX_SY_SZ_S10_S11_S12_S13_S14_S15_S16_S17_S18_NST_IJLi19EEEES1G_NST_IJLi20EEEEEEENS5_IJS1A_SZ_S10_S11_S12_S1B_S1C_S1D_S1E_S15_S16_S18_S17_S1F_S1G_NST_IJLi22EEEENST_IJLi23ELi24EEEENST_IJLi25EEEEEEENST_IJLi22ELi23ELi24ELi25EEEElEENSB_INS5_IJSR_SP_SP_SR_SG_SG_S2A_S2C_EEENS5_IJSU_SV_SW_SY_SX_SZ_S11_S10_EEENS5_IJS1M_SX_SY_S1N_S11_S12_NST_IJLi9ELi10EEEENST_IJLi11EEEEEEENST_IJLi8ELi9ELi10ELi11EEEElEENS5_IJNSB_INS5_IJSK_SP_SP_NSQ_INS5_IJiS2B_NS27_IiLi64EEEEEELb0EEES2W_EEENS5_IJSU_SV_SW_SX_SY_EEENS5_IJS1M_SX_SY_NST_IJLi5ELi6ELi7EEEENST_IJLi8ELi9ELi10EEEEEEENST_IJLi5ELi6ELi7ELi8ELi9ELi10EEEElEEEEES33_NS_31BlockToCTileMap_M00_N00_M01_N01ILi128ELi128ES1V_Lb0EEENS1_30ComputePtrOffsetOfStridedBatchILi1ELi1ELi1EvEELb1ELb0EEEvPKT0_S3B_T1_PT2_T3_T4_T5_iT6_T7_T8_T9_T10_T11_.numbered_sgpr, 69
	.set _ZN2ck16tensor_operation6device12_GLOBAL__N_137kernel_grouped_conv_fwd_dl_multiple_dINS_32GridwiseGemmDlMultipleD_km_kn_mnILi256EDF16_fNS_5TupleIJDF16_EEEDF16_NS0_12element_wise11PassThroughES8_NS7_7AddReluELNS_25InMemoryDataOperationEnumE0ENS_16TensorDescriptorINS5_IJNS_5EmbedINS5_IJiiiiEEESD_Lb0EEENS_11PassThroughIiEENS_3PadIiiiLb0EEESI_SG_SG_NSC_INS5_IJiiEEESJ_Lb0EEESK_SG_NS_23Merge_v2_magic_divisionINS5_IJiiiEEEEESN_NS_8RightPadIiiLb0EEESP_NS_7UnMergeISJ_Lb0EEESG_EEENS5_IJNS_8SequenceIJLi0EEEENST_IJLi1EEEENST_IJLi2EEEENST_IJLi3EEEENST_IJLi4EEEENST_IJLi5EEEENST_IJLi6EEEENST_IJLi7EEEENST_IJLi8EEEENST_IJLi9ELi11ELi13EEEENST_IJLi10ELi12ELi14EEEENST_IJLi15EEEENST_IJLi16EEEENST_IJLi18EEEENST_IJLi17EEEEEEENS5_IJNST_IJLi1ELi2ELi3ELi4EEEESZ_S10_S11_S12_NST_IJLi9EEEENST_IJLi10ELi11EEEENST_IJLi12ELi13EEEENST_IJLi14EEEES15_S16_S18_S17_NST_IJLi19ELi20EEEENST_IJLi21EEEEEEENST_IJLi19ELi21ELi20EEEElEENSB_INS5_IJSR_SP_SP_SR_SG_EEENS5_IJSU_SV_SW_SY_SX_EEENS5_IJNST_IJLi1ELi2EEEESX_SY_NST_IJLi5ELi6EEEES11_EEENST_IJLi5ELi7ELi6EEEElEENSB_INS5_IJSK_SP_SP_EEENS5_IJSU_SV_SW_EEENS5_IJS1M_SX_SY_EEENST_IJLi3ELi4EEEElEELi128ELi128ELi16ELi2ELi4ELi4ELi1ENST_IJLi8ELi2EEEES1W_NST_IJLi8ELi1ELi1ELi2EEEENST_IJLi2ELi1ELi128ELi1EEEENST_IJLi1ELi2ELi0ELi3EEEES1Z_NST_IJLi4ELi1ELi1ELi2EEEES1Z_NST_IJLi1ELi1ELi1ELi2EEEES1X_S1Y_S1Z_S1Z_S20_S1Z_S21_NST_IJLi0ELi1ELi2ELi3ELi4ELi5EEEELi5ELi4EEEDF16_NS5_IJPKDF16_EEEDF16_S8_S8_S9_NSB_INS5_IJSE_SG_SI_SI_SG_SG_SK_SK_SG_SN_SN_SP_SP_SR_SG_SG_NSQ_INS5_IJiNS_17integral_constantIiLi128EEEEEELb0EEENSF_INS27_IiLi2EEEEEEEENS5_IJSU_SV_SW_SX_SY_SZ_S10_S11_S12_S13_S14_S15_S16_S17_S18_NST_IJLi19EEEES1G_NST_IJLi20EEEEEEENS5_IJS1A_SZ_S10_S11_S12_S1B_S1C_S1D_S1E_S15_S16_S18_S17_S1F_S1G_NST_IJLi22EEEENST_IJLi23ELi24EEEENST_IJLi25EEEEEEENST_IJLi22ELi23ELi24ELi25EEEElEENSB_INS5_IJSR_SP_SP_SR_SG_SG_S2A_S2C_EEENS5_IJSU_SV_SW_SY_SX_SZ_S11_S10_EEENS5_IJS1M_SX_SY_S1N_S11_S12_NST_IJLi9ELi10EEEENST_IJLi11EEEEEEENST_IJLi8ELi9ELi10ELi11EEEElEENS5_IJNSB_INS5_IJSK_SP_SP_NSQ_INS5_IJiS2B_NS27_IiLi64EEEEEELb0EEES2W_EEENS5_IJSU_SV_SW_SX_SY_EEENS5_IJS1M_SX_SY_NST_IJLi5ELi6ELi7EEEENST_IJLi8ELi9ELi10EEEEEEENST_IJLi5ELi6ELi7ELi8ELi9ELi10EEEElEEEEES33_NS_31BlockToCTileMap_M00_N00_M01_N01ILi128ELi128ES1V_Lb0EEENS1_30ComputePtrOffsetOfStridedBatchILi1ELi1ELi1EvEELb1ELb0EEEvPKT0_S3B_T1_PT2_T3_T4_T5_iT6_T7_T8_T9_T10_T11_.num_named_barrier, 0
	.set _ZN2ck16tensor_operation6device12_GLOBAL__N_137kernel_grouped_conv_fwd_dl_multiple_dINS_32GridwiseGemmDlMultipleD_km_kn_mnILi256EDF16_fNS_5TupleIJDF16_EEEDF16_NS0_12element_wise11PassThroughES8_NS7_7AddReluELNS_25InMemoryDataOperationEnumE0ENS_16TensorDescriptorINS5_IJNS_5EmbedINS5_IJiiiiEEESD_Lb0EEENS_11PassThroughIiEENS_3PadIiiiLb0EEESI_SG_SG_NSC_INS5_IJiiEEESJ_Lb0EEESK_SG_NS_23Merge_v2_magic_divisionINS5_IJiiiEEEEESN_NS_8RightPadIiiLb0EEESP_NS_7UnMergeISJ_Lb0EEESG_EEENS5_IJNS_8SequenceIJLi0EEEENST_IJLi1EEEENST_IJLi2EEEENST_IJLi3EEEENST_IJLi4EEEENST_IJLi5EEEENST_IJLi6EEEENST_IJLi7EEEENST_IJLi8EEEENST_IJLi9ELi11ELi13EEEENST_IJLi10ELi12ELi14EEEENST_IJLi15EEEENST_IJLi16EEEENST_IJLi18EEEENST_IJLi17EEEEEEENS5_IJNST_IJLi1ELi2ELi3ELi4EEEESZ_S10_S11_S12_NST_IJLi9EEEENST_IJLi10ELi11EEEENST_IJLi12ELi13EEEENST_IJLi14EEEES15_S16_S18_S17_NST_IJLi19ELi20EEEENST_IJLi21EEEEEEENST_IJLi19ELi21ELi20EEEElEENSB_INS5_IJSR_SP_SP_SR_SG_EEENS5_IJSU_SV_SW_SY_SX_EEENS5_IJNST_IJLi1ELi2EEEESX_SY_NST_IJLi5ELi6EEEES11_EEENST_IJLi5ELi7ELi6EEEElEENSB_INS5_IJSK_SP_SP_EEENS5_IJSU_SV_SW_EEENS5_IJS1M_SX_SY_EEENST_IJLi3ELi4EEEElEELi128ELi128ELi16ELi2ELi4ELi4ELi1ENST_IJLi8ELi2EEEES1W_NST_IJLi8ELi1ELi1ELi2EEEENST_IJLi2ELi1ELi128ELi1EEEENST_IJLi1ELi2ELi0ELi3EEEES1Z_NST_IJLi4ELi1ELi1ELi2EEEES1Z_NST_IJLi1ELi1ELi1ELi2EEEES1X_S1Y_S1Z_S1Z_S20_S1Z_S21_NST_IJLi0ELi1ELi2ELi3ELi4ELi5EEEELi5ELi4EEEDF16_NS5_IJPKDF16_EEEDF16_S8_S8_S9_NSB_INS5_IJSE_SG_SI_SI_SG_SG_SK_SK_SG_SN_SN_SP_SP_SR_SG_SG_NSQ_INS5_IJiNS_17integral_constantIiLi128EEEEEELb0EEENSF_INS27_IiLi2EEEEEEEENS5_IJSU_SV_SW_SX_SY_SZ_S10_S11_S12_S13_S14_S15_S16_S17_S18_NST_IJLi19EEEES1G_NST_IJLi20EEEEEEENS5_IJS1A_SZ_S10_S11_S12_S1B_S1C_S1D_S1E_S15_S16_S18_S17_S1F_S1G_NST_IJLi22EEEENST_IJLi23ELi24EEEENST_IJLi25EEEEEEENST_IJLi22ELi23ELi24ELi25EEEElEENSB_INS5_IJSR_SP_SP_SR_SG_SG_S2A_S2C_EEENS5_IJSU_SV_SW_SY_SX_SZ_S11_S10_EEENS5_IJS1M_SX_SY_S1N_S11_S12_NST_IJLi9ELi10EEEENST_IJLi11EEEEEEENST_IJLi8ELi9ELi10ELi11EEEElEENS5_IJNSB_INS5_IJSK_SP_SP_NSQ_INS5_IJiS2B_NS27_IiLi64EEEEEELb0EEES2W_EEENS5_IJSU_SV_SW_SX_SY_EEENS5_IJS1M_SX_SY_NST_IJLi5ELi6ELi7EEEENST_IJLi8ELi9ELi10EEEEEEENST_IJLi5ELi6ELi7ELi8ELi9ELi10EEEElEEEEES33_NS_31BlockToCTileMap_M00_N00_M01_N01ILi128ELi128ES1V_Lb0EEENS1_30ComputePtrOffsetOfStridedBatchILi1ELi1ELi1EvEELb1ELb0EEEvPKT0_S3B_T1_PT2_T3_T4_T5_iT6_T7_T8_T9_T10_T11_.private_seg_size, 0
	.set _ZN2ck16tensor_operation6device12_GLOBAL__N_137kernel_grouped_conv_fwd_dl_multiple_dINS_32GridwiseGemmDlMultipleD_km_kn_mnILi256EDF16_fNS_5TupleIJDF16_EEEDF16_NS0_12element_wise11PassThroughES8_NS7_7AddReluELNS_25InMemoryDataOperationEnumE0ENS_16TensorDescriptorINS5_IJNS_5EmbedINS5_IJiiiiEEESD_Lb0EEENS_11PassThroughIiEENS_3PadIiiiLb0EEESI_SG_SG_NSC_INS5_IJiiEEESJ_Lb0EEESK_SG_NS_23Merge_v2_magic_divisionINS5_IJiiiEEEEESN_NS_8RightPadIiiLb0EEESP_NS_7UnMergeISJ_Lb0EEESG_EEENS5_IJNS_8SequenceIJLi0EEEENST_IJLi1EEEENST_IJLi2EEEENST_IJLi3EEEENST_IJLi4EEEENST_IJLi5EEEENST_IJLi6EEEENST_IJLi7EEEENST_IJLi8EEEENST_IJLi9ELi11ELi13EEEENST_IJLi10ELi12ELi14EEEENST_IJLi15EEEENST_IJLi16EEEENST_IJLi18EEEENST_IJLi17EEEEEEENS5_IJNST_IJLi1ELi2ELi3ELi4EEEESZ_S10_S11_S12_NST_IJLi9EEEENST_IJLi10ELi11EEEENST_IJLi12ELi13EEEENST_IJLi14EEEES15_S16_S18_S17_NST_IJLi19ELi20EEEENST_IJLi21EEEEEEENST_IJLi19ELi21ELi20EEEElEENSB_INS5_IJSR_SP_SP_SR_SG_EEENS5_IJSU_SV_SW_SY_SX_EEENS5_IJNST_IJLi1ELi2EEEESX_SY_NST_IJLi5ELi6EEEES11_EEENST_IJLi5ELi7ELi6EEEElEENSB_INS5_IJSK_SP_SP_EEENS5_IJSU_SV_SW_EEENS5_IJS1M_SX_SY_EEENST_IJLi3ELi4EEEElEELi128ELi128ELi16ELi2ELi4ELi4ELi1ENST_IJLi8ELi2EEEES1W_NST_IJLi8ELi1ELi1ELi2EEEENST_IJLi2ELi1ELi128ELi1EEEENST_IJLi1ELi2ELi0ELi3EEEES1Z_NST_IJLi4ELi1ELi1ELi2EEEES1Z_NST_IJLi1ELi1ELi1ELi2EEEES1X_S1Y_S1Z_S1Z_S20_S1Z_S21_NST_IJLi0ELi1ELi2ELi3ELi4ELi5EEEELi5ELi4EEEDF16_NS5_IJPKDF16_EEEDF16_S8_S8_S9_NSB_INS5_IJSE_SG_SI_SI_SG_SG_SK_SK_SG_SN_SN_SP_SP_SR_SG_SG_NSQ_INS5_IJiNS_17integral_constantIiLi128EEEEEELb0EEENSF_INS27_IiLi2EEEEEEEENS5_IJSU_SV_SW_SX_SY_SZ_S10_S11_S12_S13_S14_S15_S16_S17_S18_NST_IJLi19EEEES1G_NST_IJLi20EEEEEEENS5_IJS1A_SZ_S10_S11_S12_S1B_S1C_S1D_S1E_S15_S16_S18_S17_S1F_S1G_NST_IJLi22EEEENST_IJLi23ELi24EEEENST_IJLi25EEEEEEENST_IJLi22ELi23ELi24ELi25EEEElEENSB_INS5_IJSR_SP_SP_SR_SG_SG_S2A_S2C_EEENS5_IJSU_SV_SW_SY_SX_SZ_S11_S10_EEENS5_IJS1M_SX_SY_S1N_S11_S12_NST_IJLi9ELi10EEEENST_IJLi11EEEEEEENST_IJLi8ELi9ELi10ELi11EEEElEENS5_IJNSB_INS5_IJSK_SP_SP_NSQ_INS5_IJiS2B_NS27_IiLi64EEEEEELb0EEES2W_EEENS5_IJSU_SV_SW_SX_SY_EEENS5_IJS1M_SX_SY_NST_IJLi5ELi6ELi7EEEENST_IJLi8ELi9ELi10EEEEEEENST_IJLi5ELi6ELi7ELi8ELi9ELi10EEEElEEEEES33_NS_31BlockToCTileMap_M00_N00_M01_N01ILi128ELi128ES1V_Lb0EEENS1_30ComputePtrOffsetOfStridedBatchILi1ELi1ELi1EvEELb1ELb0EEEvPKT0_S3B_T1_PT2_T3_T4_T5_iT6_T7_T8_T9_T10_T11_.uses_vcc, 1
	.set _ZN2ck16tensor_operation6device12_GLOBAL__N_137kernel_grouped_conv_fwd_dl_multiple_dINS_32GridwiseGemmDlMultipleD_km_kn_mnILi256EDF16_fNS_5TupleIJDF16_EEEDF16_NS0_12element_wise11PassThroughES8_NS7_7AddReluELNS_25InMemoryDataOperationEnumE0ENS_16TensorDescriptorINS5_IJNS_5EmbedINS5_IJiiiiEEESD_Lb0EEENS_11PassThroughIiEENS_3PadIiiiLb0EEESI_SG_SG_NSC_INS5_IJiiEEESJ_Lb0EEESK_SG_NS_23Merge_v2_magic_divisionINS5_IJiiiEEEEESN_NS_8RightPadIiiLb0EEESP_NS_7UnMergeISJ_Lb0EEESG_EEENS5_IJNS_8SequenceIJLi0EEEENST_IJLi1EEEENST_IJLi2EEEENST_IJLi3EEEENST_IJLi4EEEENST_IJLi5EEEENST_IJLi6EEEENST_IJLi7EEEENST_IJLi8EEEENST_IJLi9ELi11ELi13EEEENST_IJLi10ELi12ELi14EEEENST_IJLi15EEEENST_IJLi16EEEENST_IJLi18EEEENST_IJLi17EEEEEEENS5_IJNST_IJLi1ELi2ELi3ELi4EEEESZ_S10_S11_S12_NST_IJLi9EEEENST_IJLi10ELi11EEEENST_IJLi12ELi13EEEENST_IJLi14EEEES15_S16_S18_S17_NST_IJLi19ELi20EEEENST_IJLi21EEEEEEENST_IJLi19ELi21ELi20EEEElEENSB_INS5_IJSR_SP_SP_SR_SG_EEENS5_IJSU_SV_SW_SY_SX_EEENS5_IJNST_IJLi1ELi2EEEESX_SY_NST_IJLi5ELi6EEEES11_EEENST_IJLi5ELi7ELi6EEEElEENSB_INS5_IJSK_SP_SP_EEENS5_IJSU_SV_SW_EEENS5_IJS1M_SX_SY_EEENST_IJLi3ELi4EEEElEELi128ELi128ELi16ELi2ELi4ELi4ELi1ENST_IJLi8ELi2EEEES1W_NST_IJLi8ELi1ELi1ELi2EEEENST_IJLi2ELi1ELi128ELi1EEEENST_IJLi1ELi2ELi0ELi3EEEES1Z_NST_IJLi4ELi1ELi1ELi2EEEES1Z_NST_IJLi1ELi1ELi1ELi2EEEES1X_S1Y_S1Z_S1Z_S20_S1Z_S21_NST_IJLi0ELi1ELi2ELi3ELi4ELi5EEEELi5ELi4EEEDF16_NS5_IJPKDF16_EEEDF16_S8_S8_S9_NSB_INS5_IJSE_SG_SI_SI_SG_SG_SK_SK_SG_SN_SN_SP_SP_SR_SG_SG_NSQ_INS5_IJiNS_17integral_constantIiLi128EEEEEELb0EEENSF_INS27_IiLi2EEEEEEEENS5_IJSU_SV_SW_SX_SY_SZ_S10_S11_S12_S13_S14_S15_S16_S17_S18_NST_IJLi19EEEES1G_NST_IJLi20EEEEEEENS5_IJS1A_SZ_S10_S11_S12_S1B_S1C_S1D_S1E_S15_S16_S18_S17_S1F_S1G_NST_IJLi22EEEENST_IJLi23ELi24EEEENST_IJLi25EEEEEEENST_IJLi22ELi23ELi24ELi25EEEElEENSB_INS5_IJSR_SP_SP_SR_SG_SG_S2A_S2C_EEENS5_IJSU_SV_SW_SY_SX_SZ_S11_S10_EEENS5_IJS1M_SX_SY_S1N_S11_S12_NST_IJLi9ELi10EEEENST_IJLi11EEEEEEENST_IJLi8ELi9ELi10ELi11EEEElEENS5_IJNSB_INS5_IJSK_SP_SP_NSQ_INS5_IJiS2B_NS27_IiLi64EEEEEELb0EEES2W_EEENS5_IJSU_SV_SW_SX_SY_EEENS5_IJS1M_SX_SY_NST_IJLi5ELi6ELi7EEEENST_IJLi8ELi9ELi10EEEEEEENST_IJLi5ELi6ELi7ELi8ELi9ELi10EEEElEEEEES33_NS_31BlockToCTileMap_M00_N00_M01_N01ILi128ELi128ES1V_Lb0EEENS1_30ComputePtrOffsetOfStridedBatchILi1ELi1ELi1EvEELb1ELb0EEEvPKT0_S3B_T1_PT2_T3_T4_T5_iT6_T7_T8_T9_T10_T11_.uses_flat_scratch, 0
	.set _ZN2ck16tensor_operation6device12_GLOBAL__N_137kernel_grouped_conv_fwd_dl_multiple_dINS_32GridwiseGemmDlMultipleD_km_kn_mnILi256EDF16_fNS_5TupleIJDF16_EEEDF16_NS0_12element_wise11PassThroughES8_NS7_7AddReluELNS_25InMemoryDataOperationEnumE0ENS_16TensorDescriptorINS5_IJNS_5EmbedINS5_IJiiiiEEESD_Lb0EEENS_11PassThroughIiEENS_3PadIiiiLb0EEESI_SG_SG_NSC_INS5_IJiiEEESJ_Lb0EEESK_SG_NS_23Merge_v2_magic_divisionINS5_IJiiiEEEEESN_NS_8RightPadIiiLb0EEESP_NS_7UnMergeISJ_Lb0EEESG_EEENS5_IJNS_8SequenceIJLi0EEEENST_IJLi1EEEENST_IJLi2EEEENST_IJLi3EEEENST_IJLi4EEEENST_IJLi5EEEENST_IJLi6EEEENST_IJLi7EEEENST_IJLi8EEEENST_IJLi9ELi11ELi13EEEENST_IJLi10ELi12ELi14EEEENST_IJLi15EEEENST_IJLi16EEEENST_IJLi18EEEENST_IJLi17EEEEEEENS5_IJNST_IJLi1ELi2ELi3ELi4EEEESZ_S10_S11_S12_NST_IJLi9EEEENST_IJLi10ELi11EEEENST_IJLi12ELi13EEEENST_IJLi14EEEES15_S16_S18_S17_NST_IJLi19ELi20EEEENST_IJLi21EEEEEEENST_IJLi19ELi21ELi20EEEElEENSB_INS5_IJSR_SP_SP_SR_SG_EEENS5_IJSU_SV_SW_SY_SX_EEENS5_IJNST_IJLi1ELi2EEEESX_SY_NST_IJLi5ELi6EEEES11_EEENST_IJLi5ELi7ELi6EEEElEENSB_INS5_IJSK_SP_SP_EEENS5_IJSU_SV_SW_EEENS5_IJS1M_SX_SY_EEENST_IJLi3ELi4EEEElEELi128ELi128ELi16ELi2ELi4ELi4ELi1ENST_IJLi8ELi2EEEES1W_NST_IJLi8ELi1ELi1ELi2EEEENST_IJLi2ELi1ELi128ELi1EEEENST_IJLi1ELi2ELi0ELi3EEEES1Z_NST_IJLi4ELi1ELi1ELi2EEEES1Z_NST_IJLi1ELi1ELi1ELi2EEEES1X_S1Y_S1Z_S1Z_S20_S1Z_S21_NST_IJLi0ELi1ELi2ELi3ELi4ELi5EEEELi5ELi4EEEDF16_NS5_IJPKDF16_EEEDF16_S8_S8_S9_NSB_INS5_IJSE_SG_SI_SI_SG_SG_SK_SK_SG_SN_SN_SP_SP_SR_SG_SG_NSQ_INS5_IJiNS_17integral_constantIiLi128EEEEEELb0EEENSF_INS27_IiLi2EEEEEEEENS5_IJSU_SV_SW_SX_SY_SZ_S10_S11_S12_S13_S14_S15_S16_S17_S18_NST_IJLi19EEEES1G_NST_IJLi20EEEEEEENS5_IJS1A_SZ_S10_S11_S12_S1B_S1C_S1D_S1E_S15_S16_S18_S17_S1F_S1G_NST_IJLi22EEEENST_IJLi23ELi24EEEENST_IJLi25EEEEEEENST_IJLi22ELi23ELi24ELi25EEEElEENSB_INS5_IJSR_SP_SP_SR_SG_SG_S2A_S2C_EEENS5_IJSU_SV_SW_SY_SX_SZ_S11_S10_EEENS5_IJS1M_SX_SY_S1N_S11_S12_NST_IJLi9ELi10EEEENST_IJLi11EEEEEEENST_IJLi8ELi9ELi10ELi11EEEElEENS5_IJNSB_INS5_IJSK_SP_SP_NSQ_INS5_IJiS2B_NS27_IiLi64EEEEEELb0EEES2W_EEENS5_IJSU_SV_SW_SX_SY_EEENS5_IJS1M_SX_SY_NST_IJLi5ELi6ELi7EEEENST_IJLi8ELi9ELi10EEEEEEENST_IJLi5ELi6ELi7ELi8ELi9ELi10EEEElEEEEES33_NS_31BlockToCTileMap_M00_N00_M01_N01ILi128ELi128ES1V_Lb0EEENS1_30ComputePtrOffsetOfStridedBatchILi1ELi1ELi1EvEELb1ELb0EEEvPKT0_S3B_T1_PT2_T3_T4_T5_iT6_T7_T8_T9_T10_T11_.has_dyn_sized_stack, 0
	.set _ZN2ck16tensor_operation6device12_GLOBAL__N_137kernel_grouped_conv_fwd_dl_multiple_dINS_32GridwiseGemmDlMultipleD_km_kn_mnILi256EDF16_fNS_5TupleIJDF16_EEEDF16_NS0_12element_wise11PassThroughES8_NS7_7AddReluELNS_25InMemoryDataOperationEnumE0ENS_16TensorDescriptorINS5_IJNS_5EmbedINS5_IJiiiiEEESD_Lb0EEENS_11PassThroughIiEENS_3PadIiiiLb0EEESI_SG_SG_NSC_INS5_IJiiEEESJ_Lb0EEESK_SG_NS_23Merge_v2_magic_divisionINS5_IJiiiEEEEESN_NS_8RightPadIiiLb0EEESP_NS_7UnMergeISJ_Lb0EEESG_EEENS5_IJNS_8SequenceIJLi0EEEENST_IJLi1EEEENST_IJLi2EEEENST_IJLi3EEEENST_IJLi4EEEENST_IJLi5EEEENST_IJLi6EEEENST_IJLi7EEEENST_IJLi8EEEENST_IJLi9ELi11ELi13EEEENST_IJLi10ELi12ELi14EEEENST_IJLi15EEEENST_IJLi16EEEENST_IJLi18EEEENST_IJLi17EEEEEEENS5_IJNST_IJLi1ELi2ELi3ELi4EEEESZ_S10_S11_S12_NST_IJLi9EEEENST_IJLi10ELi11EEEENST_IJLi12ELi13EEEENST_IJLi14EEEES15_S16_S18_S17_NST_IJLi19ELi20EEEENST_IJLi21EEEEEEENST_IJLi19ELi21ELi20EEEElEENSB_INS5_IJSR_SP_SP_SR_SG_EEENS5_IJSU_SV_SW_SY_SX_EEENS5_IJNST_IJLi1ELi2EEEESX_SY_NST_IJLi5ELi6EEEES11_EEENST_IJLi5ELi7ELi6EEEElEENSB_INS5_IJSK_SP_SP_EEENS5_IJSU_SV_SW_EEENS5_IJS1M_SX_SY_EEENST_IJLi3ELi4EEEElEELi128ELi128ELi16ELi2ELi4ELi4ELi1ENST_IJLi8ELi2EEEES1W_NST_IJLi8ELi1ELi1ELi2EEEENST_IJLi2ELi1ELi128ELi1EEEENST_IJLi1ELi2ELi0ELi3EEEES1Z_NST_IJLi4ELi1ELi1ELi2EEEES1Z_NST_IJLi1ELi1ELi1ELi2EEEES1X_S1Y_S1Z_S1Z_S20_S1Z_S21_NST_IJLi0ELi1ELi2ELi3ELi4ELi5EEEELi5ELi4EEEDF16_NS5_IJPKDF16_EEEDF16_S8_S8_S9_NSB_INS5_IJSE_SG_SI_SI_SG_SG_SK_SK_SG_SN_SN_SP_SP_SR_SG_SG_NSQ_INS5_IJiNS_17integral_constantIiLi128EEEEEELb0EEENSF_INS27_IiLi2EEEEEEEENS5_IJSU_SV_SW_SX_SY_SZ_S10_S11_S12_S13_S14_S15_S16_S17_S18_NST_IJLi19EEEES1G_NST_IJLi20EEEEEEENS5_IJS1A_SZ_S10_S11_S12_S1B_S1C_S1D_S1E_S15_S16_S18_S17_S1F_S1G_NST_IJLi22EEEENST_IJLi23ELi24EEEENST_IJLi25EEEEEEENST_IJLi22ELi23ELi24ELi25EEEElEENSB_INS5_IJSR_SP_SP_SR_SG_SG_S2A_S2C_EEENS5_IJSU_SV_SW_SY_SX_SZ_S11_S10_EEENS5_IJS1M_SX_SY_S1N_S11_S12_NST_IJLi9ELi10EEEENST_IJLi11EEEEEEENST_IJLi8ELi9ELi10ELi11EEEElEENS5_IJNSB_INS5_IJSK_SP_SP_NSQ_INS5_IJiS2B_NS27_IiLi64EEEEEELb0EEES2W_EEENS5_IJSU_SV_SW_SX_SY_EEENS5_IJS1M_SX_SY_NST_IJLi5ELi6ELi7EEEENST_IJLi8ELi9ELi10EEEEEEENST_IJLi5ELi6ELi7ELi8ELi9ELi10EEEElEEEEES33_NS_31BlockToCTileMap_M00_N00_M01_N01ILi128ELi128ES1V_Lb0EEENS1_30ComputePtrOffsetOfStridedBatchILi1ELi1ELi1EvEELb1ELb0EEEvPKT0_S3B_T1_PT2_T3_T4_T5_iT6_T7_T8_T9_T10_T11_.has_recursion, 0
	.set _ZN2ck16tensor_operation6device12_GLOBAL__N_137kernel_grouped_conv_fwd_dl_multiple_dINS_32GridwiseGemmDlMultipleD_km_kn_mnILi256EDF16_fNS_5TupleIJDF16_EEEDF16_NS0_12element_wise11PassThroughES8_NS7_7AddReluELNS_25InMemoryDataOperationEnumE0ENS_16TensorDescriptorINS5_IJNS_5EmbedINS5_IJiiiiEEESD_Lb0EEENS_11PassThroughIiEENS_3PadIiiiLb0EEESI_SG_SG_NSC_INS5_IJiiEEESJ_Lb0EEESK_SG_NS_23Merge_v2_magic_divisionINS5_IJiiiEEEEESN_NS_8RightPadIiiLb0EEESP_NS_7UnMergeISJ_Lb0EEESG_EEENS5_IJNS_8SequenceIJLi0EEEENST_IJLi1EEEENST_IJLi2EEEENST_IJLi3EEEENST_IJLi4EEEENST_IJLi5EEEENST_IJLi6EEEENST_IJLi7EEEENST_IJLi8EEEENST_IJLi9ELi11ELi13EEEENST_IJLi10ELi12ELi14EEEENST_IJLi15EEEENST_IJLi16EEEENST_IJLi18EEEENST_IJLi17EEEEEEENS5_IJNST_IJLi1ELi2ELi3ELi4EEEESZ_S10_S11_S12_NST_IJLi9EEEENST_IJLi10ELi11EEEENST_IJLi12ELi13EEEENST_IJLi14EEEES15_S16_S18_S17_NST_IJLi19ELi20EEEENST_IJLi21EEEEEEENST_IJLi19ELi21ELi20EEEElEENSB_INS5_IJSR_SP_SP_SR_SG_EEENS5_IJSU_SV_SW_SY_SX_EEENS5_IJNST_IJLi1ELi2EEEESX_SY_NST_IJLi5ELi6EEEES11_EEENST_IJLi5ELi7ELi6EEEElEENSB_INS5_IJSK_SP_SP_EEENS5_IJSU_SV_SW_EEENS5_IJS1M_SX_SY_EEENST_IJLi3ELi4EEEElEELi128ELi128ELi16ELi2ELi4ELi4ELi1ENST_IJLi8ELi2EEEES1W_NST_IJLi8ELi1ELi1ELi2EEEENST_IJLi2ELi1ELi128ELi1EEEENST_IJLi1ELi2ELi0ELi3EEEES1Z_NST_IJLi4ELi1ELi1ELi2EEEES1Z_NST_IJLi1ELi1ELi1ELi2EEEES1X_S1Y_S1Z_S1Z_S20_S1Z_S21_NST_IJLi0ELi1ELi2ELi3ELi4ELi5EEEELi5ELi4EEEDF16_NS5_IJPKDF16_EEEDF16_S8_S8_S9_NSB_INS5_IJSE_SG_SI_SI_SG_SG_SK_SK_SG_SN_SN_SP_SP_SR_SG_SG_NSQ_INS5_IJiNS_17integral_constantIiLi128EEEEEELb0EEENSF_INS27_IiLi2EEEEEEEENS5_IJSU_SV_SW_SX_SY_SZ_S10_S11_S12_S13_S14_S15_S16_S17_S18_NST_IJLi19EEEES1G_NST_IJLi20EEEEEEENS5_IJS1A_SZ_S10_S11_S12_S1B_S1C_S1D_S1E_S15_S16_S18_S17_S1F_S1G_NST_IJLi22EEEENST_IJLi23ELi24EEEENST_IJLi25EEEEEEENST_IJLi22ELi23ELi24ELi25EEEElEENSB_INS5_IJSR_SP_SP_SR_SG_SG_S2A_S2C_EEENS5_IJSU_SV_SW_SY_SX_SZ_S11_S10_EEENS5_IJS1M_SX_SY_S1N_S11_S12_NST_IJLi9ELi10EEEENST_IJLi11EEEEEEENST_IJLi8ELi9ELi10ELi11EEEElEENS5_IJNSB_INS5_IJSK_SP_SP_NSQ_INS5_IJiS2B_NS27_IiLi64EEEEEELb0EEES2W_EEENS5_IJSU_SV_SW_SX_SY_EEENS5_IJS1M_SX_SY_NST_IJLi5ELi6ELi7EEEENST_IJLi8ELi9ELi10EEEEEEENST_IJLi5ELi6ELi7ELi8ELi9ELi10EEEElEEEEES33_NS_31BlockToCTileMap_M00_N00_M01_N01ILi128ELi128ES1V_Lb0EEENS1_30ComputePtrOffsetOfStridedBatchILi1ELi1ELi1EvEELb1ELb0EEEvPKT0_S3B_T1_PT2_T3_T4_T5_iT6_T7_T8_T9_T10_T11_.has_indirect_call, 0
	.section	.AMDGPU.csdata,"",@progbits
; Kernel info:
; codeLenInByte = 20956
; TotalNumSgprs: 71
; NumVgprs: 127
; ScratchSize: 0
; MemoryBound: 0
; FloatMode: 240
; IeeeMode: 1
; LDSByteSize: 32768 bytes/workgroup (compile time only)
; SGPRBlocks: 0
; VGPRBlocks: 15
; NumSGPRsForWavesPerEU: 71
; NumVGPRsForWavesPerEU: 127
; Occupancy: 8
; WaveLimiterHint : 0
; COMPUTE_PGM_RSRC2:SCRATCH_EN: 0
; COMPUTE_PGM_RSRC2:USER_SGPR: 6
; COMPUTE_PGM_RSRC2:TRAP_HANDLER: 0
; COMPUTE_PGM_RSRC2:TGID_X_EN: 1
; COMPUTE_PGM_RSRC2:TGID_Y_EN: 0
; COMPUTE_PGM_RSRC2:TGID_Z_EN: 0
; COMPUTE_PGM_RSRC2:TIDIG_COMP_CNT: 0
	.section	.text._ZN2ck16tensor_operation6device12_GLOBAL__N_137kernel_grouped_conv_fwd_dl_multiple_dINS_32GridwiseGemmDlMultipleD_km_kn_mnILi256EDF16_fNS_5TupleIJDF16_EEEDF16_NS0_12element_wise11PassThroughES8_NS7_7AddReluELNS_25InMemoryDataOperationEnumE0ENS_16TensorDescriptorINS5_IJNS_5EmbedINS5_IJiiiiEEESD_Lb0EEENS_11PassThroughIiEENS_3PadIiiiLb0EEESI_SG_SG_NSC_INS5_IJiiEEESJ_Lb0EEESK_SG_NS_23Merge_v2_magic_divisionINS5_IJiiiEEEEESN_NS_8RightPadIiiLb0EEESP_NS_7UnMergeISJ_Lb0EEESG_EEENS5_IJNS_8SequenceIJLi0EEEENST_IJLi1EEEENST_IJLi2EEEENST_IJLi3EEEENST_IJLi4EEEENST_IJLi5EEEENST_IJLi6EEEENST_IJLi7EEEENST_IJLi8EEEENST_IJLi9ELi11ELi13EEEENST_IJLi10ELi12ELi14EEEENST_IJLi15EEEENST_IJLi16EEEENST_IJLi18EEEENST_IJLi17EEEEEEENS5_IJNST_IJLi1ELi2ELi3ELi4EEEESZ_S10_S11_S12_NST_IJLi9EEEENST_IJLi10ELi11EEEENST_IJLi12ELi13EEEENST_IJLi14EEEES15_S16_S18_S17_NST_IJLi19ELi20EEEENST_IJLi21EEEEEEENST_IJLi19ELi21ELi20EEEElEENSB_INS5_IJSR_SP_SP_SR_SG_EEENS5_IJSU_SV_SW_SY_SX_EEENS5_IJNST_IJLi1ELi2EEEESX_SY_NST_IJLi5ELi6EEEES11_EEENST_IJLi5ELi7ELi6EEEElEENSB_INS5_IJSK_SP_SP_EEENS5_IJSU_SV_SW_EEENS5_IJS1M_SX_SY_EEENST_IJLi3ELi4EEEElEELi128ELi128ELi16ELi2ELi4ELi4ELi1ENST_IJLi8ELi2EEEES1W_NST_IJLi8ELi1ELi1ELi2EEEENST_IJLi2ELi1ELi128ELi1EEEENST_IJLi1ELi2ELi0ELi3EEEES1Z_NST_IJLi4ELi1ELi1ELi2EEEES1Z_NST_IJLi1ELi1ELi1ELi2EEEES1X_S1Y_S1Z_S1Z_S20_S1Z_S21_NST_IJLi0ELi1ELi2ELi3ELi4ELi5EEEELi5ELi4EEEDF16_NS5_IJPKDF16_EEEDF16_S8_S8_S9_NSB_INS5_IJSE_SG_SI_SI_SG_SG_SK_SK_SG_SN_SN_SP_SP_SR_SG_SG_NSQ_INS5_IJiNS_17integral_constantIiLi128EEEEEELb0EEENSF_INS27_IiLi2EEEEEEEENS5_IJSU_SV_SW_SX_SY_SZ_S10_S11_S12_S13_S14_S15_S16_S17_S18_NST_IJLi19EEEES1G_NST_IJLi20EEEEEEENS5_IJS1A_SZ_S10_S11_S12_S1B_S1C_S1D_S1E_S15_S16_S18_S17_S1F_S1G_NST_IJLi22EEEENST_IJLi23ELi24EEEENST_IJLi25EEEEEEENST_IJLi22ELi23ELi24ELi25EEEElEENSB_INS5_IJSR_SP_SP_SR_SG_SG_S2A_S2C_EEENS5_IJSU_SV_SW_SY_SX_SZ_S11_S10_EEENS5_IJS1M_SX_SY_S1N_S11_S12_NST_IJLi9ELi10EEEENST_IJLi11EEEEEEENST_IJLi8ELi9ELi10ELi11EEEElEENS5_IJNSB_INS5_IJSK_SP_SP_NSQ_INS5_IJiS2B_NS27_IiLi64EEEEEELb0EEES2W_EEENS5_IJSU_SV_SW_SX_SY_EEENS5_IJS1M_SX_SY_NST_IJLi5ELi6ELi7EEEENST_IJLi8ELi9ELi10EEEEEEENST_IJLi5ELi6ELi7ELi8ELi9ELi10EEEElEEEEES33_NS_31BlockToCTileMap_M00_N00_M01_N01ILi128ELi128ES1V_Lb0EEENS1_30ComputePtrOffsetOfStridedBatchILi1ELi1ELi1EvEELb0ELb1EEEvPKT0_S3B_T1_PT2_T3_T4_T5_iT6_T7_T8_T9_T10_T11_,"axG",@progbits,_ZN2ck16tensor_operation6device12_GLOBAL__N_137kernel_grouped_conv_fwd_dl_multiple_dINS_32GridwiseGemmDlMultipleD_km_kn_mnILi256EDF16_fNS_5TupleIJDF16_EEEDF16_NS0_12element_wise11PassThroughES8_NS7_7AddReluELNS_25InMemoryDataOperationEnumE0ENS_16TensorDescriptorINS5_IJNS_5EmbedINS5_IJiiiiEEESD_Lb0EEENS_11PassThroughIiEENS_3PadIiiiLb0EEESI_SG_SG_NSC_INS5_IJiiEEESJ_Lb0EEESK_SG_NS_23Merge_v2_magic_divisionINS5_IJiiiEEEEESN_NS_8RightPadIiiLb0EEESP_NS_7UnMergeISJ_Lb0EEESG_EEENS5_IJNS_8SequenceIJLi0EEEENST_IJLi1EEEENST_IJLi2EEEENST_IJLi3EEEENST_IJLi4EEEENST_IJLi5EEEENST_IJLi6EEEENST_IJLi7EEEENST_IJLi8EEEENST_IJLi9ELi11ELi13EEEENST_IJLi10ELi12ELi14EEEENST_IJLi15EEEENST_IJLi16EEEENST_IJLi18EEEENST_IJLi17EEEEEEENS5_IJNST_IJLi1ELi2ELi3ELi4EEEESZ_S10_S11_S12_NST_IJLi9EEEENST_IJLi10ELi11EEEENST_IJLi12ELi13EEEENST_IJLi14EEEES15_S16_S18_S17_NST_IJLi19ELi20EEEENST_IJLi21EEEEEEENST_IJLi19ELi21ELi20EEEElEENSB_INS5_IJSR_SP_SP_SR_SG_EEENS5_IJSU_SV_SW_SY_SX_EEENS5_IJNST_IJLi1ELi2EEEESX_SY_NST_IJLi5ELi6EEEES11_EEENST_IJLi5ELi7ELi6EEEElEENSB_INS5_IJSK_SP_SP_EEENS5_IJSU_SV_SW_EEENS5_IJS1M_SX_SY_EEENST_IJLi3ELi4EEEElEELi128ELi128ELi16ELi2ELi4ELi4ELi1ENST_IJLi8ELi2EEEES1W_NST_IJLi8ELi1ELi1ELi2EEEENST_IJLi2ELi1ELi128ELi1EEEENST_IJLi1ELi2ELi0ELi3EEEES1Z_NST_IJLi4ELi1ELi1ELi2EEEES1Z_NST_IJLi1ELi1ELi1ELi2EEEES1X_S1Y_S1Z_S1Z_S20_S1Z_S21_NST_IJLi0ELi1ELi2ELi3ELi4ELi5EEEELi5ELi4EEEDF16_NS5_IJPKDF16_EEEDF16_S8_S8_S9_NSB_INS5_IJSE_SG_SI_SI_SG_SG_SK_SK_SG_SN_SN_SP_SP_SR_SG_SG_NSQ_INS5_IJiNS_17integral_constantIiLi128EEEEEELb0EEENSF_INS27_IiLi2EEEEEEEENS5_IJSU_SV_SW_SX_SY_SZ_S10_S11_S12_S13_S14_S15_S16_S17_S18_NST_IJLi19EEEES1G_NST_IJLi20EEEEEEENS5_IJS1A_SZ_S10_S11_S12_S1B_S1C_S1D_S1E_S15_S16_S18_S17_S1F_S1G_NST_IJLi22EEEENST_IJLi23ELi24EEEENST_IJLi25EEEEEEENST_IJLi22ELi23ELi24ELi25EEEElEENSB_INS5_IJSR_SP_SP_SR_SG_SG_S2A_S2C_EEENS5_IJSU_SV_SW_SY_SX_SZ_S11_S10_EEENS5_IJS1M_SX_SY_S1N_S11_S12_NST_IJLi9ELi10EEEENST_IJLi11EEEEEEENST_IJLi8ELi9ELi10ELi11EEEElEENS5_IJNSB_INS5_IJSK_SP_SP_NSQ_INS5_IJiS2B_NS27_IiLi64EEEEEELb0EEES2W_EEENS5_IJSU_SV_SW_SX_SY_EEENS5_IJS1M_SX_SY_NST_IJLi5ELi6ELi7EEEENST_IJLi8ELi9ELi10EEEEEEENST_IJLi5ELi6ELi7ELi8ELi9ELi10EEEElEEEEES33_NS_31BlockToCTileMap_M00_N00_M01_N01ILi128ELi128ES1V_Lb0EEENS1_30ComputePtrOffsetOfStridedBatchILi1ELi1ELi1EvEELb0ELb1EEEvPKT0_S3B_T1_PT2_T3_T4_T5_iT6_T7_T8_T9_T10_T11_,comdat
	.globl	_ZN2ck16tensor_operation6device12_GLOBAL__N_137kernel_grouped_conv_fwd_dl_multiple_dINS_32GridwiseGemmDlMultipleD_km_kn_mnILi256EDF16_fNS_5TupleIJDF16_EEEDF16_NS0_12element_wise11PassThroughES8_NS7_7AddReluELNS_25InMemoryDataOperationEnumE0ENS_16TensorDescriptorINS5_IJNS_5EmbedINS5_IJiiiiEEESD_Lb0EEENS_11PassThroughIiEENS_3PadIiiiLb0EEESI_SG_SG_NSC_INS5_IJiiEEESJ_Lb0EEESK_SG_NS_23Merge_v2_magic_divisionINS5_IJiiiEEEEESN_NS_8RightPadIiiLb0EEESP_NS_7UnMergeISJ_Lb0EEESG_EEENS5_IJNS_8SequenceIJLi0EEEENST_IJLi1EEEENST_IJLi2EEEENST_IJLi3EEEENST_IJLi4EEEENST_IJLi5EEEENST_IJLi6EEEENST_IJLi7EEEENST_IJLi8EEEENST_IJLi9ELi11ELi13EEEENST_IJLi10ELi12ELi14EEEENST_IJLi15EEEENST_IJLi16EEEENST_IJLi18EEEENST_IJLi17EEEEEEENS5_IJNST_IJLi1ELi2ELi3ELi4EEEESZ_S10_S11_S12_NST_IJLi9EEEENST_IJLi10ELi11EEEENST_IJLi12ELi13EEEENST_IJLi14EEEES15_S16_S18_S17_NST_IJLi19ELi20EEEENST_IJLi21EEEEEEENST_IJLi19ELi21ELi20EEEElEENSB_INS5_IJSR_SP_SP_SR_SG_EEENS5_IJSU_SV_SW_SY_SX_EEENS5_IJNST_IJLi1ELi2EEEESX_SY_NST_IJLi5ELi6EEEES11_EEENST_IJLi5ELi7ELi6EEEElEENSB_INS5_IJSK_SP_SP_EEENS5_IJSU_SV_SW_EEENS5_IJS1M_SX_SY_EEENST_IJLi3ELi4EEEElEELi128ELi128ELi16ELi2ELi4ELi4ELi1ENST_IJLi8ELi2EEEES1W_NST_IJLi8ELi1ELi1ELi2EEEENST_IJLi2ELi1ELi128ELi1EEEENST_IJLi1ELi2ELi0ELi3EEEES1Z_NST_IJLi4ELi1ELi1ELi2EEEES1Z_NST_IJLi1ELi1ELi1ELi2EEEES1X_S1Y_S1Z_S1Z_S20_S1Z_S21_NST_IJLi0ELi1ELi2ELi3ELi4ELi5EEEELi5ELi4EEEDF16_NS5_IJPKDF16_EEEDF16_S8_S8_S9_NSB_INS5_IJSE_SG_SI_SI_SG_SG_SK_SK_SG_SN_SN_SP_SP_SR_SG_SG_NSQ_INS5_IJiNS_17integral_constantIiLi128EEEEEELb0EEENSF_INS27_IiLi2EEEEEEEENS5_IJSU_SV_SW_SX_SY_SZ_S10_S11_S12_S13_S14_S15_S16_S17_S18_NST_IJLi19EEEES1G_NST_IJLi20EEEEEEENS5_IJS1A_SZ_S10_S11_S12_S1B_S1C_S1D_S1E_S15_S16_S18_S17_S1F_S1G_NST_IJLi22EEEENST_IJLi23ELi24EEEENST_IJLi25EEEEEEENST_IJLi22ELi23ELi24ELi25EEEElEENSB_INS5_IJSR_SP_SP_SR_SG_SG_S2A_S2C_EEENS5_IJSU_SV_SW_SY_SX_SZ_S11_S10_EEENS5_IJS1M_SX_SY_S1N_S11_S12_NST_IJLi9ELi10EEEENST_IJLi11EEEEEEENST_IJLi8ELi9ELi10ELi11EEEElEENS5_IJNSB_INS5_IJSK_SP_SP_NSQ_INS5_IJiS2B_NS27_IiLi64EEEEEELb0EEES2W_EEENS5_IJSU_SV_SW_SX_SY_EEENS5_IJS1M_SX_SY_NST_IJLi5ELi6ELi7EEEENST_IJLi8ELi9ELi10EEEEEEENST_IJLi5ELi6ELi7ELi8ELi9ELi10EEEElEEEEES33_NS_31BlockToCTileMap_M00_N00_M01_N01ILi128ELi128ES1V_Lb0EEENS1_30ComputePtrOffsetOfStridedBatchILi1ELi1ELi1EvEELb0ELb1EEEvPKT0_S3B_T1_PT2_T3_T4_T5_iT6_T7_T8_T9_T10_T11_ ; -- Begin function _ZN2ck16tensor_operation6device12_GLOBAL__N_137kernel_grouped_conv_fwd_dl_multiple_dINS_32GridwiseGemmDlMultipleD_km_kn_mnILi256EDF16_fNS_5TupleIJDF16_EEEDF16_NS0_12element_wise11PassThroughES8_NS7_7AddReluELNS_25InMemoryDataOperationEnumE0ENS_16TensorDescriptorINS5_IJNS_5EmbedINS5_IJiiiiEEESD_Lb0EEENS_11PassThroughIiEENS_3PadIiiiLb0EEESI_SG_SG_NSC_INS5_IJiiEEESJ_Lb0EEESK_SG_NS_23Merge_v2_magic_divisionINS5_IJiiiEEEEESN_NS_8RightPadIiiLb0EEESP_NS_7UnMergeISJ_Lb0EEESG_EEENS5_IJNS_8SequenceIJLi0EEEENST_IJLi1EEEENST_IJLi2EEEENST_IJLi3EEEENST_IJLi4EEEENST_IJLi5EEEENST_IJLi6EEEENST_IJLi7EEEENST_IJLi8EEEENST_IJLi9ELi11ELi13EEEENST_IJLi10ELi12ELi14EEEENST_IJLi15EEEENST_IJLi16EEEENST_IJLi18EEEENST_IJLi17EEEEEEENS5_IJNST_IJLi1ELi2ELi3ELi4EEEESZ_S10_S11_S12_NST_IJLi9EEEENST_IJLi10ELi11EEEENST_IJLi12ELi13EEEENST_IJLi14EEEES15_S16_S18_S17_NST_IJLi19ELi20EEEENST_IJLi21EEEEEEENST_IJLi19ELi21ELi20EEEElEENSB_INS5_IJSR_SP_SP_SR_SG_EEENS5_IJSU_SV_SW_SY_SX_EEENS5_IJNST_IJLi1ELi2EEEESX_SY_NST_IJLi5ELi6EEEES11_EEENST_IJLi5ELi7ELi6EEEElEENSB_INS5_IJSK_SP_SP_EEENS5_IJSU_SV_SW_EEENS5_IJS1M_SX_SY_EEENST_IJLi3ELi4EEEElEELi128ELi128ELi16ELi2ELi4ELi4ELi1ENST_IJLi8ELi2EEEES1W_NST_IJLi8ELi1ELi1ELi2EEEENST_IJLi2ELi1ELi128ELi1EEEENST_IJLi1ELi2ELi0ELi3EEEES1Z_NST_IJLi4ELi1ELi1ELi2EEEES1Z_NST_IJLi1ELi1ELi1ELi2EEEES1X_S1Y_S1Z_S1Z_S20_S1Z_S21_NST_IJLi0ELi1ELi2ELi3ELi4ELi5EEEELi5ELi4EEEDF16_NS5_IJPKDF16_EEEDF16_S8_S8_S9_NSB_INS5_IJSE_SG_SI_SI_SG_SG_SK_SK_SG_SN_SN_SP_SP_SR_SG_SG_NSQ_INS5_IJiNS_17integral_constantIiLi128EEEEEELb0EEENSF_INS27_IiLi2EEEEEEEENS5_IJSU_SV_SW_SX_SY_SZ_S10_S11_S12_S13_S14_S15_S16_S17_S18_NST_IJLi19EEEES1G_NST_IJLi20EEEEEEENS5_IJS1A_SZ_S10_S11_S12_S1B_S1C_S1D_S1E_S15_S16_S18_S17_S1F_S1G_NST_IJLi22EEEENST_IJLi23ELi24EEEENST_IJLi25EEEEEEENST_IJLi22ELi23ELi24ELi25EEEElEENSB_INS5_IJSR_SP_SP_SR_SG_SG_S2A_S2C_EEENS5_IJSU_SV_SW_SY_SX_SZ_S11_S10_EEENS5_IJS1M_SX_SY_S1N_S11_S12_NST_IJLi9ELi10EEEENST_IJLi11EEEEEEENST_IJLi8ELi9ELi10ELi11EEEElEENS5_IJNSB_INS5_IJSK_SP_SP_NSQ_INS5_IJiS2B_NS27_IiLi64EEEEEELb0EEES2W_EEENS5_IJSU_SV_SW_SX_SY_EEENS5_IJS1M_SX_SY_NST_IJLi5ELi6ELi7EEEENST_IJLi8ELi9ELi10EEEEEEENST_IJLi5ELi6ELi7ELi8ELi9ELi10EEEElEEEEES33_NS_31BlockToCTileMap_M00_N00_M01_N01ILi128ELi128ES1V_Lb0EEENS1_30ComputePtrOffsetOfStridedBatchILi1ELi1ELi1EvEELb0ELb1EEEvPKT0_S3B_T1_PT2_T3_T4_T5_iT6_T7_T8_T9_T10_T11_
	.p2align	8
	.type	_ZN2ck16tensor_operation6device12_GLOBAL__N_137kernel_grouped_conv_fwd_dl_multiple_dINS_32GridwiseGemmDlMultipleD_km_kn_mnILi256EDF16_fNS_5TupleIJDF16_EEEDF16_NS0_12element_wise11PassThroughES8_NS7_7AddReluELNS_25InMemoryDataOperationEnumE0ENS_16TensorDescriptorINS5_IJNS_5EmbedINS5_IJiiiiEEESD_Lb0EEENS_11PassThroughIiEENS_3PadIiiiLb0EEESI_SG_SG_NSC_INS5_IJiiEEESJ_Lb0EEESK_SG_NS_23Merge_v2_magic_divisionINS5_IJiiiEEEEESN_NS_8RightPadIiiLb0EEESP_NS_7UnMergeISJ_Lb0EEESG_EEENS5_IJNS_8SequenceIJLi0EEEENST_IJLi1EEEENST_IJLi2EEEENST_IJLi3EEEENST_IJLi4EEEENST_IJLi5EEEENST_IJLi6EEEENST_IJLi7EEEENST_IJLi8EEEENST_IJLi9ELi11ELi13EEEENST_IJLi10ELi12ELi14EEEENST_IJLi15EEEENST_IJLi16EEEENST_IJLi18EEEENST_IJLi17EEEEEEENS5_IJNST_IJLi1ELi2ELi3ELi4EEEESZ_S10_S11_S12_NST_IJLi9EEEENST_IJLi10ELi11EEEENST_IJLi12ELi13EEEENST_IJLi14EEEES15_S16_S18_S17_NST_IJLi19ELi20EEEENST_IJLi21EEEEEEENST_IJLi19ELi21ELi20EEEElEENSB_INS5_IJSR_SP_SP_SR_SG_EEENS5_IJSU_SV_SW_SY_SX_EEENS5_IJNST_IJLi1ELi2EEEESX_SY_NST_IJLi5ELi6EEEES11_EEENST_IJLi5ELi7ELi6EEEElEENSB_INS5_IJSK_SP_SP_EEENS5_IJSU_SV_SW_EEENS5_IJS1M_SX_SY_EEENST_IJLi3ELi4EEEElEELi128ELi128ELi16ELi2ELi4ELi4ELi1ENST_IJLi8ELi2EEEES1W_NST_IJLi8ELi1ELi1ELi2EEEENST_IJLi2ELi1ELi128ELi1EEEENST_IJLi1ELi2ELi0ELi3EEEES1Z_NST_IJLi4ELi1ELi1ELi2EEEES1Z_NST_IJLi1ELi1ELi1ELi2EEEES1X_S1Y_S1Z_S1Z_S20_S1Z_S21_NST_IJLi0ELi1ELi2ELi3ELi4ELi5EEEELi5ELi4EEEDF16_NS5_IJPKDF16_EEEDF16_S8_S8_S9_NSB_INS5_IJSE_SG_SI_SI_SG_SG_SK_SK_SG_SN_SN_SP_SP_SR_SG_SG_NSQ_INS5_IJiNS_17integral_constantIiLi128EEEEEELb0EEENSF_INS27_IiLi2EEEEEEEENS5_IJSU_SV_SW_SX_SY_SZ_S10_S11_S12_S13_S14_S15_S16_S17_S18_NST_IJLi19EEEES1G_NST_IJLi20EEEEEEENS5_IJS1A_SZ_S10_S11_S12_S1B_S1C_S1D_S1E_S15_S16_S18_S17_S1F_S1G_NST_IJLi22EEEENST_IJLi23ELi24EEEENST_IJLi25EEEEEEENST_IJLi22ELi23ELi24ELi25EEEElEENSB_INS5_IJSR_SP_SP_SR_SG_SG_S2A_S2C_EEENS5_IJSU_SV_SW_SY_SX_SZ_S11_S10_EEENS5_IJS1M_SX_SY_S1N_S11_S12_NST_IJLi9ELi10EEEENST_IJLi11EEEEEEENST_IJLi8ELi9ELi10ELi11EEEElEENS5_IJNSB_INS5_IJSK_SP_SP_NSQ_INS5_IJiS2B_NS27_IiLi64EEEEEELb0EEES2W_EEENS5_IJSU_SV_SW_SX_SY_EEENS5_IJS1M_SX_SY_NST_IJLi5ELi6ELi7EEEENST_IJLi8ELi9ELi10EEEEEEENST_IJLi5ELi6ELi7ELi8ELi9ELi10EEEElEEEEES33_NS_31BlockToCTileMap_M00_N00_M01_N01ILi128ELi128ES1V_Lb0EEENS1_30ComputePtrOffsetOfStridedBatchILi1ELi1ELi1EvEELb0ELb1EEEvPKT0_S3B_T1_PT2_T3_T4_T5_iT6_T7_T8_T9_T10_T11_,@function
_ZN2ck16tensor_operation6device12_GLOBAL__N_137kernel_grouped_conv_fwd_dl_multiple_dINS_32GridwiseGemmDlMultipleD_km_kn_mnILi256EDF16_fNS_5TupleIJDF16_EEEDF16_NS0_12element_wise11PassThroughES8_NS7_7AddReluELNS_25InMemoryDataOperationEnumE0ENS_16TensorDescriptorINS5_IJNS_5EmbedINS5_IJiiiiEEESD_Lb0EEENS_11PassThroughIiEENS_3PadIiiiLb0EEESI_SG_SG_NSC_INS5_IJiiEEESJ_Lb0EEESK_SG_NS_23Merge_v2_magic_divisionINS5_IJiiiEEEEESN_NS_8RightPadIiiLb0EEESP_NS_7UnMergeISJ_Lb0EEESG_EEENS5_IJNS_8SequenceIJLi0EEEENST_IJLi1EEEENST_IJLi2EEEENST_IJLi3EEEENST_IJLi4EEEENST_IJLi5EEEENST_IJLi6EEEENST_IJLi7EEEENST_IJLi8EEEENST_IJLi9ELi11ELi13EEEENST_IJLi10ELi12ELi14EEEENST_IJLi15EEEENST_IJLi16EEEENST_IJLi18EEEENST_IJLi17EEEEEEENS5_IJNST_IJLi1ELi2ELi3ELi4EEEESZ_S10_S11_S12_NST_IJLi9EEEENST_IJLi10ELi11EEEENST_IJLi12ELi13EEEENST_IJLi14EEEES15_S16_S18_S17_NST_IJLi19ELi20EEEENST_IJLi21EEEEEEENST_IJLi19ELi21ELi20EEEElEENSB_INS5_IJSR_SP_SP_SR_SG_EEENS5_IJSU_SV_SW_SY_SX_EEENS5_IJNST_IJLi1ELi2EEEESX_SY_NST_IJLi5ELi6EEEES11_EEENST_IJLi5ELi7ELi6EEEElEENSB_INS5_IJSK_SP_SP_EEENS5_IJSU_SV_SW_EEENS5_IJS1M_SX_SY_EEENST_IJLi3ELi4EEEElEELi128ELi128ELi16ELi2ELi4ELi4ELi1ENST_IJLi8ELi2EEEES1W_NST_IJLi8ELi1ELi1ELi2EEEENST_IJLi2ELi1ELi128ELi1EEEENST_IJLi1ELi2ELi0ELi3EEEES1Z_NST_IJLi4ELi1ELi1ELi2EEEES1Z_NST_IJLi1ELi1ELi1ELi2EEEES1X_S1Y_S1Z_S1Z_S20_S1Z_S21_NST_IJLi0ELi1ELi2ELi3ELi4ELi5EEEELi5ELi4EEEDF16_NS5_IJPKDF16_EEEDF16_S8_S8_S9_NSB_INS5_IJSE_SG_SI_SI_SG_SG_SK_SK_SG_SN_SN_SP_SP_SR_SG_SG_NSQ_INS5_IJiNS_17integral_constantIiLi128EEEEEELb0EEENSF_INS27_IiLi2EEEEEEEENS5_IJSU_SV_SW_SX_SY_SZ_S10_S11_S12_S13_S14_S15_S16_S17_S18_NST_IJLi19EEEES1G_NST_IJLi20EEEEEEENS5_IJS1A_SZ_S10_S11_S12_S1B_S1C_S1D_S1E_S15_S16_S18_S17_S1F_S1G_NST_IJLi22EEEENST_IJLi23ELi24EEEENST_IJLi25EEEEEEENST_IJLi22ELi23ELi24ELi25EEEElEENSB_INS5_IJSR_SP_SP_SR_SG_SG_S2A_S2C_EEENS5_IJSU_SV_SW_SY_SX_SZ_S11_S10_EEENS5_IJS1M_SX_SY_S1N_S11_S12_NST_IJLi9ELi10EEEENST_IJLi11EEEEEEENST_IJLi8ELi9ELi10ELi11EEEElEENS5_IJNSB_INS5_IJSK_SP_SP_NSQ_INS5_IJiS2B_NS27_IiLi64EEEEEELb0EEES2W_EEENS5_IJSU_SV_SW_SX_SY_EEENS5_IJS1M_SX_SY_NST_IJLi5ELi6ELi7EEEENST_IJLi8ELi9ELi10EEEEEEENST_IJLi5ELi6ELi7ELi8ELi9ELi10EEEElEEEEES33_NS_31BlockToCTileMap_M00_N00_M01_N01ILi128ELi128ES1V_Lb0EEENS1_30ComputePtrOffsetOfStridedBatchILi1ELi1ELi1EvEELb0ELb1EEEvPKT0_S3B_T1_PT2_T3_T4_T5_iT6_T7_T8_T9_T10_T11_: ; @_ZN2ck16tensor_operation6device12_GLOBAL__N_137kernel_grouped_conv_fwd_dl_multiple_dINS_32GridwiseGemmDlMultipleD_km_kn_mnILi256EDF16_fNS_5TupleIJDF16_EEEDF16_NS0_12element_wise11PassThroughES8_NS7_7AddReluELNS_25InMemoryDataOperationEnumE0ENS_16TensorDescriptorINS5_IJNS_5EmbedINS5_IJiiiiEEESD_Lb0EEENS_11PassThroughIiEENS_3PadIiiiLb0EEESI_SG_SG_NSC_INS5_IJiiEEESJ_Lb0EEESK_SG_NS_23Merge_v2_magic_divisionINS5_IJiiiEEEEESN_NS_8RightPadIiiLb0EEESP_NS_7UnMergeISJ_Lb0EEESG_EEENS5_IJNS_8SequenceIJLi0EEEENST_IJLi1EEEENST_IJLi2EEEENST_IJLi3EEEENST_IJLi4EEEENST_IJLi5EEEENST_IJLi6EEEENST_IJLi7EEEENST_IJLi8EEEENST_IJLi9ELi11ELi13EEEENST_IJLi10ELi12ELi14EEEENST_IJLi15EEEENST_IJLi16EEEENST_IJLi18EEEENST_IJLi17EEEEEEENS5_IJNST_IJLi1ELi2ELi3ELi4EEEESZ_S10_S11_S12_NST_IJLi9EEEENST_IJLi10ELi11EEEENST_IJLi12ELi13EEEENST_IJLi14EEEES15_S16_S18_S17_NST_IJLi19ELi20EEEENST_IJLi21EEEEEEENST_IJLi19ELi21ELi20EEEElEENSB_INS5_IJSR_SP_SP_SR_SG_EEENS5_IJSU_SV_SW_SY_SX_EEENS5_IJNST_IJLi1ELi2EEEESX_SY_NST_IJLi5ELi6EEEES11_EEENST_IJLi5ELi7ELi6EEEElEENSB_INS5_IJSK_SP_SP_EEENS5_IJSU_SV_SW_EEENS5_IJS1M_SX_SY_EEENST_IJLi3ELi4EEEElEELi128ELi128ELi16ELi2ELi4ELi4ELi1ENST_IJLi8ELi2EEEES1W_NST_IJLi8ELi1ELi1ELi2EEEENST_IJLi2ELi1ELi128ELi1EEEENST_IJLi1ELi2ELi0ELi3EEEES1Z_NST_IJLi4ELi1ELi1ELi2EEEES1Z_NST_IJLi1ELi1ELi1ELi2EEEES1X_S1Y_S1Z_S1Z_S20_S1Z_S21_NST_IJLi0ELi1ELi2ELi3ELi4ELi5EEEELi5ELi4EEEDF16_NS5_IJPKDF16_EEEDF16_S8_S8_S9_NSB_INS5_IJSE_SG_SI_SI_SG_SG_SK_SK_SG_SN_SN_SP_SP_SR_SG_SG_NSQ_INS5_IJiNS_17integral_constantIiLi128EEEEEELb0EEENSF_INS27_IiLi2EEEEEEEENS5_IJSU_SV_SW_SX_SY_SZ_S10_S11_S12_S13_S14_S15_S16_S17_S18_NST_IJLi19EEEES1G_NST_IJLi20EEEEEEENS5_IJS1A_SZ_S10_S11_S12_S1B_S1C_S1D_S1E_S15_S16_S18_S17_S1F_S1G_NST_IJLi22EEEENST_IJLi23ELi24EEEENST_IJLi25EEEEEEENST_IJLi22ELi23ELi24ELi25EEEElEENSB_INS5_IJSR_SP_SP_SR_SG_SG_S2A_S2C_EEENS5_IJSU_SV_SW_SY_SX_SZ_S11_S10_EEENS5_IJS1M_SX_SY_S1N_S11_S12_NST_IJLi9ELi10EEEENST_IJLi11EEEEEEENST_IJLi8ELi9ELi10ELi11EEEElEENS5_IJNSB_INS5_IJSK_SP_SP_NSQ_INS5_IJiS2B_NS27_IiLi64EEEEEELb0EEES2W_EEENS5_IJSU_SV_SW_SX_SY_EEENS5_IJS1M_SX_SY_NST_IJLi5ELi6ELi7EEEENST_IJLi8ELi9ELi10EEEEEEENST_IJLi5ELi6ELi7ELi8ELi9ELi10EEEElEEEEES33_NS_31BlockToCTileMap_M00_N00_M01_N01ILi128ELi128ES1V_Lb0EEENS1_30ComputePtrOffsetOfStridedBatchILi1ELi1ELi1EvEELb0ELb1EEEvPKT0_S3B_T1_PT2_T3_T4_T5_iT6_T7_T8_T9_T10_T11_
; %bb.0:
	s_clause 0x7
	s_load_dword s0, s[4:5], 0x24
	s_load_dwordx4 s[24:27], s[4:5], 0x38
	s_load_dword s2, s[4:5], 0x2c8
	s_load_dwordx8 s[16:23], s[4:5], 0x2a0
	s_load_dwordx4 s[36:39], s[4:5], 0x260
	s_load_dwordx4 s[40:43], s[4:5], 0x274
	s_load_dwordx2 s[44:45], s[4:5], 0xc8
	s_load_dword s61, s[4:5], 0x254
	v_lshrrev_b32_e32 v80, 1, v0
	v_lshrrev_b32_e32 v83, 5, v0
	v_lshlrev_b32_e32 v84, 1, v0
	v_lshlrev_b32_e32 v109, 2, v0
	v_mov_b32_e32 v69, 0
	v_mov_b32_e32 v70, 0
	;; [unrolled: 1-line block ×3, first 2 shown]
	v_and_b32_e32 v91, 0x1f8, v84
	v_mov_b32_e32 v47, 0
	v_mov_b32_e32 v63, 0
	v_mov_b32_e32 v64, 0
	v_mov_b32_e32 v40, 0
	v_mov_b32_e32 v41, 0
	s_waitcnt lgkmcnt(0)
	s_abs_i32 s1, s0
	v_mov_b32_e32 v56, 0
	v_cvt_f32_u32_e32 v1, s1
	s_sub_i32 s7, 0, s1
	s_abs_i32 s8, s2
	s_xor_b32 s0, s2, s0
	v_mov_b32_e32 v59, 0
	v_rcp_iflag_f32_e32 v1, v1
	s_ashr_i32 s0, s0, 31
	v_mov_b32_e32 v37, 0
	v_mov_b32_e32 v38, 0
	;; [unrolled: 1-line block ×8, first 2 shown]
	v_mul_f32_e32 v1, 0x4f7ffffe, v1
	v_mov_b32_e32 v44, 0
	v_mov_b32_e32 v45, 0
	;; [unrolled: 1-line block ×4, first 2 shown]
	v_cvt_u32_f32_e32 v1, v1
	v_mov_b32_e32 v42, 0
	v_mov_b32_e32 v43, 0
	v_mov_b32_e32 v72, 0
	v_mov_b32_e32 v67, 0
	v_readfirstlane_b32 s3, v1
	v_mov_b32_e32 v36, 0
	v_mov_b32_e32 v39, 0
	;; [unrolled: 1-line block ×4, first 2 shown]
	s_mul_i32 s7, s7, s3
	v_mov_b32_e32 v34, 0
	s_mul_hi_u32 s7, s3, s7
	v_mov_b32_e32 v35, 0
	s_add_i32 s3, s3, s7
	v_mov_b32_e32 v24, 0
	s_mul_hi_u32 s3, s8, s3
	v_mov_b32_e32 v61, 0
	s_mul_i32 s2, s3, s1
	s_add_i32 s7, s3, 1
	s_sub_i32 s2, s8, s2
	v_mov_b32_e32 v62, 0
	s_sub_i32 s8, s2, s1
	s_cmp_ge_u32 s2, s1
	v_mov_b32_e32 v17, 0
	s_cselect_b32 s3, s7, s3
	s_cselect_b32 s2, s8, s2
	s_add_i32 s7, s3, 1
	s_cmp_ge_u32 s2, s1
	s_load_dwordx8 s[8:15], s[4:5], 0x0
	s_cselect_b32 s1, s7, s3
	s_abs_i32 s28, s6
	s_xor_b32 s1, s1, s0
	s_load_dword s7, s[4:5], 0x100
	s_sub_i32 s0, s1, s0
	v_mov_b32_e32 v55, 0
	s_abs_i32 s1, s0
	s_xor_b32 s0, s6, s0
	v_cvt_f32_u32_e32 v1, s1
	s_sub_i32 s3, 0, s1
	s_ashr_i32 s29, s0, 31
	v_mov_b32_e32 v57, 0
	v_mov_b32_e32 v20, 0
	v_rcp_iflag_f32_e32 v1, v1
	v_mov_b32_e32 v21, 0
	v_mov_b32_e32 v50, 0
	;; [unrolled: 1-line block ×9, first 2 shown]
	v_mul_f32_e32 v1, 0x4f7ffffe, v1
	v_mov_b32_e32 v78, 0
	v_mov_b32_e32 v75, 0
	;; [unrolled: 1-line block ×4, first 2 shown]
	v_cvt_u32_f32_e32 v1, v1
	v_mov_b32_e32 v71, 0
	v_mov_b32_e32 v23, 0
	;; [unrolled: 1-line block ×4, first 2 shown]
	v_readfirstlane_b32 s2, v1
	v_lshlrev_b32_e32 v1, 3, v0
	v_mov_b32_e32 v30, 0
	v_mov_b32_e32 v58, 0
	;; [unrolled: 1-line block ×3, first 2 shown]
	s_mul_i32 s3, s3, s2
	v_and_b32_e32 v1, 8, v1
	s_mul_hi_u32 s3, s2, s3
	s_add_i32 s2, s2, s3
	s_mul_hi_u32 s2, s28, s2
	v_or_b32_e32 v2, 4, v1
	s_mul_i32 s3, s2, s1
	v_or_b32_e32 v18, 16, v1
	s_sub_i32 s0, s28, s3
	s_add_i32 s3, s2, 1
	s_sub_i32 s28, s0, s1
	s_cmp_ge_u32 s0, s1
	s_cselect_b32 s2, s3, s2
	s_cselect_b32 s0, s28, s0
	s_add_i32 s3, s2, 1
	s_cmp_ge_u32 s0, s1
	s_cselect_b32 s0, s3, s2
	s_xor_b32 s28, s0, s29
	s_load_dwordx4 s[0:3], s[4:5], 0x288
	s_sub_i32 s33, s28, s29
	s_ashr_i32 s29, s33, 31
	s_mul_hi_u32 s46, s20, s33
	s_mul_i32 s30, s20, s33
	s_mul_i32 s20, s20, s29
	s_mul_hi_u32 s31, s16, s33
	s_mul_i32 s28, s16, s33
	s_mul_i32 s21, s21, s33
	;; [unrolled: 1-line block ×3, first 2 shown]
	s_add_i32 s20, s46, s20
	s_mul_hi_u32 s34, s18, s33
	s_mul_hi_u32 s35, s22, s33
	s_mul_i32 s47, s18, s29
	s_mul_i32 s48, s22, s29
	;; [unrolled: 1-line block ×3, first 2 shown]
	s_add_i32 s16, s31, s16
	s_add_i32 s31, s20, s21
	s_mul_i32 s19, s19, s33
	s_mul_i32 s23, s23, s33
	s_add_i32 s34, s34, s47
	s_add_i32 s35, s35, s48
	;; [unrolled: 1-line block ×3, first 2 shown]
	s_lshl_b64 s[16:17], s[30:31], 1
	s_add_i32 s19, s34, s19
	s_add_i32 s23, s35, s23
	s_waitcnt lgkmcnt(0)
	s_add_u32 s20, s12, s16
	s_addc_u32 s21, s13, s17
	s_lshl_b64 s[12:13], s[28:29], 1
	s_mul_i32 s18, s18, s33
	s_add_u32 s16, s8, s12
	s_addc_u32 s17, s9, s13
	s_lshl_b64 s[8:9], s[18:19], 1
	s_mul_i32 s22, s22, s33
	s_add_u32 s28, s10, s8
	s_addc_u32 s18, s11, s9
	s_lshl_b64 s[8:9], s[22:23], 1
	s_mul_hi_u32 s10, s43, s6
	s_add_u32 s12, s14, s8
	s_addc_u32 s13, s15, s9
	s_add_i32 s8, s6, s10
	s_clause 0x4
	s_load_dword s55, s[4:5], 0x128
	s_load_dword s29, s[4:5], 0x138
	;; [unrolled: 1-line block ×5, first 2 shown]
	s_lshr_b32 s58, s8, s3
	s_clause 0x2
	s_load_dwordx2 s[30:31], s[4:5], 0xac
	s_load_dwordx2 s[46:47], s[4:5], 0xbc
	;; [unrolled: 1-line block ×3, first 2 shown]
	s_mul_hi_u32 s3, s58, s42
	s_clause 0x3
	s_load_dwordx2 s[42:43], s[4:5], 0x74
	s_load_dwordx2 s[22:23], s[4:5], 0x84
	;; [unrolled: 1-line block ×4, first 2 shown]
	s_add_i32 s3, s58, s3
	s_mov_b32 s19, 0x31014000
	s_lshr_b32 s59, s3, s2
	s_load_dword s2, s[4:5], 0x244
	s_mul_hi_u32 s3, s59, s41
	v_mul_lo_u32 v94, s7, v2
	s_add_i32 s3, s59, s3
	v_mul_lo_u32 v93, s7, v1
	s_lshr_b32 s60, s3, s1
	s_and_b32 s17, s17, 0xffff
	s_mul_hi_u32 s1, s60, s40
	v_mul_lo_u32 v104, s7, v18
	s_add_i32 s1, s60, s1
	v_mul_hi_u32 v3, v94, s45
	s_lshr_b32 s0, s1, s0
	s_mul_i32 s1, s59, s38
	s_mul_i32 s0, s0, s36
	s_sub_i32 s1, s58, s1
	s_sub_i32 s0, s60, s0
	v_mul_hi_u32 v2, v93, s45
	s_mul_i32 s60, s60, s37
	v_add_nc_u32_e32 v3, v94, v3
	s_mul_i32 s58, s58, s39
	s_waitcnt lgkmcnt(0)
	s_mul_i32 s0, s0, s2
	s_sub_i32 s6, s6, s58
	s_add_i32 s1, s1, s0
	v_lshrrev_b32_e32 v5, s49, v3
	s_lshl_b32 s41, s1, 7
	v_add_nc_u32_e32 v2, v93, v2
	v_or_b32_e32 v95, s41, v80
	s_clause 0x3
	s_load_dword s50, s[4:5], 0x50
	s_load_dwordx4 s[0:3], s[4:5], 0x4c
	s_load_dword s53, s[4:5], 0x5c
	s_load_dwordx4 s[8:11], s[4:5], 0x58
	v_mul_hi_u32 v6, v5, s44
	v_mul_lo_u32 v8, v5, s47
	v_lshrrev_b32_e32 v4, s49, v2
	v_mul_hi_u32 v7, v95, s57
	s_waitcnt lgkmcnt(0)
	s_sub_i32 s3, s59, s60
	v_mul_lo_u32 v14, s54, v1
	s_mul_i32 s3, s3, s61
	v_mul_lo_u32 v2, v4, s47
	v_mul_hi_u32 v3, v4, s44
	v_add_nc_u32_e32 v6, v5, v6
	v_sub_nc_u32_e32 v96, v94, v8
	v_add_nc_u32_e32 v7, v95, v7
	s_add_i32 s6, s6, s3
	s_clause 0x4
	s_load_dword s1, s[4:5], 0x188
	s_load_dwordx2 s[14:15], s[4:5], 0x198
	s_load_dword s33, s[4:5], 0x1a4
	s_load_dword s38, s[4:5], 0x1b0
	;; [unrolled: 1-line block ×3, first 2 shown]
	v_lshrrev_b32_e32 v97, s48, v6
	v_sub_nc_u32_e32 v9, v93, v2
	v_lshrrev_b32_e32 v6, s31, v7
	v_add_nc_u32_e32 v3, v4, v3
	s_lshl_b32 s39, s6, 7
	v_mul_lo_u32 v11, v97, s46
	v_sub_nc_u32_e32 v7, v96, v9
	v_mul_hi_u32 v8, v6, s56
	v_lshrrev_b32_e32 v3, s48, v3
	v_or_b32_e32 v100, s39, v80
	s_mov_b32 s31, s19
	s_lshl_b32 s11, s54, 2
	v_mul_hi_u32 v18, v104, s45
	v_mul_lo_u32 v10, v3, s46
	v_mul_lo_u32 v2, v3, s42
	v_sub_nc_u32_e32 v12, v97, v3
	v_mul_lo_u32 v3, v7, s27
	v_add_nc_u32_e32 v7, v6, v8
	v_sub_nc_u32_e32 v98, v5, v11
	v_mul_lo_u32 v5, v6, s35
	v_mul_lo_u32 v99, v12, s42
	v_sub_nc_u32_e32 v8, v4, v10
	v_lshrrev_b32_e32 v7, s30, v7
	s_waitcnt lgkmcnt(0)
	s_lshl_b32 s30, s1, 1
	v_lshl_add_u32 v105, s7, 2, v104
	v_add_nc_u32_e32 v22, v104, v18
	v_mul_lo_u32 v4, v8, s22
	v_mul_lo_u32 v10, v7, s34
	v_sub_nc_u32_e32 v11, v95, v5
	v_sub_nc_u32_e32 v8, v98, v8
	v_mul_hi_u32 v29, v105, s45
	v_lshrrev_b32_e32 v81, s49, v22
	v_lshlrev_b32_e32 v80, 2, v80
	s_mul_i32 s54, s54, 12
	v_mul_lo_u32 v101, v8, s22
	v_sub_nc_u32_e32 v10, v6, v10
	v_mad_u64_u32 v[5:6], null, v100, s29, v[14:15]
	s_and_b32 s29, s18, 0xffff
	s_lshl_b32 s18, s55, 1
	v_mad_u64_u32 v[89:90], null, v10, s43, v[2:3]
	v_mul_lo_u32 v2, v9, s27
	v_mul_lo_u32 v9, v7, s24
	v_mad_u64_u32 v[15:16], null, v11, s23, v[4:5]
	v_mad_u64_u32 v[10:11], null, v99, s25, v[3:4]
	v_lshlrev_b32_e32 v3, 1, v5
	v_add_nc_u32_e32 v102, s11, v5
	v_subrev_nc_u32_e32 v8, s50, v89
	v_mul_lo_u32 v11, v101, s26
	v_subrev_nc_u32_e32 v4, s53, v15
	v_mul_hi_u32 v33, v81, s44
	v_add_nc_u32_e32 v82, v105, v29
	v_mul_lo_u32 v108, v81, s47
	s_sub_i32 s23, s0, s2
	v_mad_u64_u32 v[6:7], null, v4, s26, v[2:3]
	buffer_load_dwordx4 v[2:5], v3, s[28:31], 0 offen
	v_mul_lo_u32 v7, v8, s25
	v_lshlrev_b32_e32 v8, 1, v102
	v_lshrrev_b32_e32 v106, s49, v82
	v_add_nc_u32_e32 v82, v81, v33
	v_cmp_gt_i32_e64 s0, s51, v100
	v_mov_b32_e32 v18, 0
	v_mov_b32_e32 v22, 0
	v_mul_hi_u32 v90, v106, s44
	v_add3_u32 v12, v6, v9, v7
	buffer_load_dwordx4 v[6:9], v8, s[28:31], 0 offen
	v_lshrrev_b32_e32 v107, s48, v82
	v_lshlrev_b32_e32 v82, 6, v83
	v_lshlrev_b32_e32 v83, 3, v83
	v_add3_u32 v103, v10, v11, v12
	v_lshlrev_b32_e32 v10, 1, v12
	v_mul_lo_u32 v92, v107, s46
	v_add_nc_u32_e32 v90, v106, v90
	v_and_or_b32 v83, v84, 4, v83
	v_lshlrev_b32_e32 v16, 1, v103
	s_clause 0x1
	buffer_load_dwordx4 v[10:13], v10, s[16:19], 0 offen
	buffer_load_dwordx4 v[85:88], v16, s[16:19], 0 offen
	v_lshl_or_b32 v84, v1, 9, v80
	v_lshrrev_b32_e32 v110, s48, v90
	v_sub_nc_u32_e32 v0, v81, v92
	v_sub_nc_u32_e32 v1, v104, v108
	;; [unrolled: 1-line block ×3, first 2 shown]
	s_clause 0x5
	s_load_dword s9, s[4:5], 0xe4
	s_load_dword s1, s[4:5], 0xf0
	s_load_dwordx2 s[34:35], s[4:5], 0x1e8
	s_load_dword s24, s[4:5], 0x1f4
	s_load_dword s36, s[4:5], 0x200
	;; [unrolled: 1-line block ×3, first 2 shown]
	v_cmp_gt_i32_e64 s5, s52, v14
	v_lshlrev_b32_e32 v80, 2, v83
	v_mad_u64_u32 v[90:91], null, v110, s46, v[0:1]
	v_and_or_b32 v82, v109, 4, v82
	s_and_b32 s5, s5, s0
	v_mov_b32_e32 v16, 0
	v_mov_b32_e32 v29, 0
	;; [unrolled: 1-line block ×3, first 2 shown]
	v_lshlrev_b32_e32 v81, 2, v82
	v_sub_nc_u32_e32 v90, v106, v90
	v_or_b32_e32 v83, s41, v83
	v_add_nc_u32_e32 v82, s39, v82
	s_and_b32 s21, s21, 0xffff
	s_waitcnt lgkmcnt(0)
	v_cmp_gt_i32_e64 s2, s9, v95
	v_mul_lo_u32 v90, v90, s22
	v_cmp_gt_i32_e64 s3, s1, v93
	v_sub_nc_u32_e32 v93, v107, v97
	v_add_nc_u32_e32 v97, s11, v14
	v_cmp_gt_i32_e64 s4, s1, v94
	v_cmp_gt_i32_e64 s6, s1, v104
	;; [unrolled: 1-line block ×3, first 2 shown]
	v_mul_lo_u32 v93, v93, s42
	v_add_nc_u32_e32 v14, s54, v97
	s_and_b32 s13, s13, 0xffff
	v_cmp_gt_i32_e64 s1, s52, v14
	s_and_b32 s1, s1, s0
	s_waitcnt vmcnt(3)
	v_mad_u64_u32 v[91:92], null, v106, s47, v[1:2]
	v_sub_nc_u32_e32 v92, v110, v107
	v_sub_nc_u32_e32 v1, v1, v96
	;; [unrolled: 1-line block ×3, first 2 shown]
	v_mul_lo_u32 v98, v90, s26
	v_cndmask_b32_e64 v5, 0, v5, s5
	v_mul_lo_u32 v92, v92, s42
	v_sub_nc_u32_e32 v91, v105, v91
	v_mul_lo_u32 v94, v96, s22
	s_sub_i32 s22, s8, s10
	v_mul_lo_u32 v0, v1, s27
	v_cmp_gt_i32_e64 s9, s22, v15
	v_mul_lo_u32 v91, v91, s27
	v_cmp_gt_i32_e64 s8, s52, v97
	v_mul_lo_u32 v96, v92, s25
	v_cmp_le_i32_e64 s10, s53, v15
	v_cndmask_b32_e64 v4, 0, v4, s5
	v_cndmask_b32_e64 v3, 0, v3, s5
	v_mad_u64_u32 v[0:1], null, v93, s25, v[0:1]
	v_mul_lo_u32 v1, v94, s26
	v_cndmask_b32_e64 v2, 0, v2, s5
	v_add3_u32 v96, v96, v91, v98
	v_add_nc_u32_e32 v91, s11, v14
	v_add_nc_u32_e32 v14, s54, v102
	s_and_b32 s5, s8, s0
	s_waitcnt vmcnt(2)
	v_cndmask_b32_e64 v7, 0, v7, s5
	v_cmp_gt_i32_e32 vcc_lo, s52, v91
	v_add_nc_u32_e32 v91, v15, v101
	v_lshlrev_b32_e32 v95, 1, v14
	v_add_lshl_u32 v97, v14, s11, 1
	s_and_b32 s11, s9, s3
	v_cndmask_b32_e64 v6, 0, v6, s5
	v_add_nc_u32_e32 v14, v91, v94
	v_cmp_gt_i32_e64 s3, s22, v91
	v_cmp_le_i32_e64 s9, s53, v91
	s_and_b32 s25, s11, s10
	v_cndmask_b32_e64 v9, 0, v9, s5
	v_cmp_gt_i32_e64 s10, s22, v14
	v_add_nc_u32_e32 v15, v14, v90
	s_and_b32 s4, s3, s4
	v_cmp_le_i32_e64 s3, s53, v14
	v_add_nc_u32_e32 v14, v89, v99
	s_and_b32 s26, s4, s9
	s_and_b32 s11, s10, s6
	v_cmp_le_i32_e64 s9, s50, v89
	v_cmp_gt_i32_e64 s10, s23, v89
	v_cmp_gt_i32_e64 s6, s22, v15
	s_and_b32 s22, s11, s3
	v_cmp_le_i32_e64 s3, s50, v14
	v_cmp_gt_i32_e64 s11, s23, v14
	s_and_b32 s9, s9, s10
	s_and_b32 s10, s6, s7
	;; [unrolled: 1-line block ×3, first 2 shown]
	v_add3_u32 v0, v0, v1, v103
	s_and_b32 s9, s3, s11
	v_cndmask_b32_e64 v1, 0, v8, s5
	s_and_b32 s9, s26, s9
	s_and_b32 s5, s2, s7
	v_add_nc_u32_e32 v14, v14, v93
	ds_write2st64_b32 v84, v2, v3 offset0:64 offset1:66
	ds_write2st64_b32 v84, v4, v5 offset0:68 offset1:70
	;; [unrolled: 1-line block ×3, first 2 shown]
	s_waitcnt vmcnt(1)
	v_cndmask_b32_e64 v2, 0, v13, s5
	v_cndmask_b32_e64 v3, 0, v12, s5
	v_cndmask_b32_e64 v4, 0, v11, s5
	v_cndmask_b32_e64 v5, 0, v10, s5
	s_and_b32 s5, s2, s9
	v_cmp_le_i32_e64 s3, s50, v14
	s_waitcnt vmcnt(0)
	v_cndmask_b32_e64 v7, 0, v86, s5
	v_cndmask_b32_e64 v8, 0, v85, s5
	;; [unrolled: 1-line block ×4, first 2 shown]
	v_cmp_gt_i32_e64 s6, s23, v14
	v_add_nc_u32_e32 v14, v14, v92
	ds_write2st64_b32 v84, v1, v9 offset0:76 offset1:78
	ds_write2st64_b32 v84, v5, v4 offset1:2
	ds_write2st64_b32 v84, v3, v2 offset0:4 offset1:6
	ds_write2st64_b32 v84, v8, v7 offset0:8 offset1:10
	;; [unrolled: 1-line block ×3, first 2 shown]
	v_lshlrev_b32_e32 v1, 1, v0
	v_add_lshl_u32 v0, v96, v0, 1
	v_cmp_le_i32_e64 s4, s53, v15
	s_waitcnt lgkmcnt(0)
	s_barrier
	ds_read_b128 v[85:88], v80
	ds_read_b128 v[89:92], v81 offset:16384
	v_cmp_le_i32_e64 s5, s50, v14
	v_cmp_gt_i32_e64 s7, s23, v14
	s_clause 0x1
	buffer_load_dwordx4 v[12:15], v1, s[16:19], 0 offen
	buffer_load_dwordx4 v[8:11], v0, s[16:19], 0 offen
	s_clause 0x1
	buffer_load_dwordx4 v[4:7], v95, s[28:31], 0 offen
	buffer_load_dwordx4 v[0:3], v97, s[28:31], 0 offen
	ds_read_b128 v[93:96], v81 offset:16640
	ds_read_b128 v[97:100], v80 offset:256
	;; [unrolled: 1-line block ×6, first 2 shown]
	s_and_b32 s3, s3, s6
	s_and_b32 s4, s10, s4
	;; [unrolled: 1-line block ×7, first 2 shown]
	s_and_b32 vcc_lo, vcc_lo, s0
	s_lshl_b32 s22, s40, 1
	s_mov_b32 s23, s19
	s_lshl_b32 s0, s15, 6
	s_waitcnt lgkmcnt(5)
	v_dot2c_f32_f16 v79, v85, v93
	v_dot2c_f32_f16 v69, v85, v89
	v_dot2c_f32_f16 v70, v85, v90
	v_dot2c_f32_f16 v46, v85, v91
	v_dot2c_f32_f16 v47, v85, v92
	v_dot2c_f32_f16 v63, v86, v89
	v_dot2c_f32_f16 v64, v86, v90
	v_dot2c_f32_f16 v40, v86, v91
	v_dot2c_f32_f16 v41, v86, v92
	v_dot2c_f32_f16 v56, v87, v89
	v_dot2c_f32_f16 v59, v87, v90
	v_dot2c_f32_f16 v37, v87, v91
	v_dot2c_f32_f16 v38, v87, v92
	v_dot2c_f32_f16 v52, v88, v89
	v_dot2c_f32_f16 v53, v88, v90
	v_dot2c_f32_f16 v27, v88, v91
	v_dot2c_f32_f16 v28, v88, v92
	v_dot2c_f32_f16 v76, v85, v94
	v_dot2c_f32_f16 v44, v85, v95
	v_dot2c_f32_f16 v45, v85, v96
	v_dot2c_f32_f16 v77, v86, v93
	v_dot2c_f32_f16 v73, v86, v94
	v_dot2c_f32_f16 v42, v86, v95
	v_dot2c_f32_f16 v43, v86, v96
	v_dot2c_f32_f16 v72, v87, v93
	v_dot2c_f32_f16 v67, v87, v94
	v_dot2c_f32_f16 v36, v87, v95
	v_dot2c_f32_f16 v39, v87, v96
	v_dot2c_f32_f16 v65, v88, v93
	v_dot2c_f32_f16 v60, v88, v94
	v_dot2c_f32_f16 v34, v88, v95
	v_dot2c_f32_f16 v35, v88, v96
	ds_read_b128 v[85:88], v81 offset:17408
	ds_read_b128 v[117:120], v81 offset:17664
	s_waitcnt lgkmcnt(6)
	v_dot2c_f32_f16 v61, v97, v89
	v_dot2c_f32_f16 v62, v97, v90
	v_dot2c_f32_f16 v16, v97, v91
	v_dot2c_f32_f16 v17, v97, v92
	v_dot2c_f32_f16 v55, v98, v89
	v_dot2c_f32_f16 v57, v98, v90
	v_dot2c_f32_f16 v20, v98, v91
	v_dot2c_f32_f16 v21, v98, v92
	v_dot2c_f32_f16 v50, v99, v89
	v_dot2c_f32_f16 v51, v99, v90
	v_dot2c_f32_f16 v25, v99, v91
	v_dot2c_f32_f16 v26, v99, v92
	v_dot2c_f32_f16 v48, v100, v89
	v_dot2c_f32_f16 v49, v100, v90
	v_dot2c_f32_f16 v31, v100, v91
	v_dot2c_f32_f16 v32, v100, v92
	v_dot2c_f32_f16 v78, v97, v93
	v_dot2c_f32_f16 v75, v97, v94
	v_dot2c_f32_f16 v18, v97, v95
	v_dot2c_f32_f16 v19, v97, v96
	v_dot2c_f32_f16 v74, v98, v93
	v_dot2c_f32_f16 v71, v98, v94
	v_dot2c_f32_f16 v22, v98, v95
	v_dot2c_f32_f16 v23, v98, v96
	v_dot2c_f32_f16 v66, v99, v93
	v_dot2c_f32_f16 v68, v99, v94
	v_dot2c_f32_f16 v29, v99, v95
	v_dot2c_f32_f16 v30, v99, v96
	v_dot2c_f32_f16 v58, v100, v93
	v_dot2c_f32_f16 v54, v100, v94
	v_dot2c_f32_f16 v33, v100, v95
	v_dot2c_f32_f16 v24, v100, v96
	ds_read_b128 v[89:92], v80 offset:1024
	ds_read_b128 v[93:96], v80 offset:1280
	;; [unrolled: 35-line block ×10, first 2 shown]
	ds_read_b128 v[113:116], v80 offset:3584
	s_waitcnt lgkmcnt(6)
	v_dot2c_f32_f16 v69, v97, v101
	v_dot2c_f32_f16 v70, v97, v102
	v_dot2c_f32_f16 v46, v97, v103
	v_dot2c_f32_f16 v47, v97, v104
	v_dot2c_f32_f16 v63, v98, v101
	v_dot2c_f32_f16 v64, v98, v102
	v_dot2c_f32_f16 v40, v98, v103
	v_dot2c_f32_f16 v41, v98, v104
	v_dot2c_f32_f16 v56, v99, v101
	v_dot2c_f32_f16 v59, v99, v102
	v_dot2c_f32_f16 v37, v99, v103
	v_dot2c_f32_f16 v38, v99, v104
	v_dot2c_f32_f16 v52, v100, v101
	v_dot2c_f32_f16 v53, v100, v102
	v_dot2c_f32_f16 v27, v100, v103
	v_dot2c_f32_f16 v28, v100, v104
	v_dot2c_f32_f16 v79, v97, v117
	v_dot2c_f32_f16 v76, v97, v118
	v_dot2c_f32_f16 v44, v97, v119
	v_dot2c_f32_f16 v45, v97, v120
	v_dot2c_f32_f16 v77, v98, v117
	v_dot2c_f32_f16 v73, v98, v118
	v_dot2c_f32_f16 v42, v98, v119
	v_dot2c_f32_f16 v43, v98, v120
	v_dot2c_f32_f16 v72, v99, v117
	v_dot2c_f32_f16 v67, v99, v118
	v_dot2c_f32_f16 v36, v99, v119
	v_dot2c_f32_f16 v39, v99, v120
	v_dot2c_f32_f16 v65, v100, v117
	v_dot2c_f32_f16 v60, v100, v118
	v_dot2c_f32_f16 v34, v100, v119
	v_dot2c_f32_f16 v35, v100, v120
	s_waitcnt lgkmcnt(5)
	v_dot2c_f32_f16 v61, v105, v101
	v_dot2c_f32_f16 v62, v105, v102
	v_dot2c_f32_f16 v16, v105, v103
	v_dot2c_f32_f16 v17, v105, v104
	v_dot2c_f32_f16 v55, v106, v101
	v_dot2c_f32_f16 v57, v106, v102
	v_dot2c_f32_f16 v20, v106, v103
	v_dot2c_f32_f16 v21, v106, v104
	v_dot2c_f32_f16 v50, v107, v101
	v_dot2c_f32_f16 v51, v107, v102
	v_dot2c_f32_f16 v25, v107, v103
	v_dot2c_f32_f16 v26, v107, v104
	v_dot2c_f32_f16 v48, v108, v101
	v_dot2c_f32_f16 v49, v108, v102
	v_dot2c_f32_f16 v31, v108, v103
	v_dot2c_f32_f16 v32, v108, v104
	v_dot2c_f32_f16 v78, v105, v117
	v_dot2c_f32_f16 v75, v105, v118
	v_dot2c_f32_f16 v18, v105, v119
	v_dot2c_f32_f16 v19, v105, v120
	v_dot2c_f32_f16 v74, v106, v117
	v_dot2c_f32_f16 v71, v106, v118
	v_dot2c_f32_f16 v22, v106, v119
	v_dot2c_f32_f16 v23, v106, v120
	v_dot2c_f32_f16 v66, v107, v117
	v_dot2c_f32_f16 v68, v107, v118
	v_dot2c_f32_f16 v29, v107, v119
	v_dot2c_f32_f16 v30, v107, v120
	v_dot2c_f32_f16 v58, v108, v117
	v_dot2c_f32_f16 v54, v108, v118
	v_dot2c_f32_f16 v33, v108, v119
	v_dot2c_f32_f16 v24, v108, v120
	;; [unrolled: 33-line block ×3, first 2 shown]
	s_waitcnt lgkmcnt(1)
	v_dot2c_f32_f16 v61, v93, v85
	v_dot2c_f32_f16 v62, v93, v86
	;; [unrolled: 1-line block ×15, first 2 shown]
	ds_read_b128 v[89:92], v81 offset:19968
	v_dot2c_f32_f16 v32, v96, v88
	v_dot2c_f32_f16 v78, v93, v109
	;; [unrolled: 1-line block ×15, first 2 shown]
	ds_read_b128 v[85:88], v81 offset:20224
	v_dot2c_f32_f16 v33, v96, v111
	v_dot2c_f32_f16 v24, v96, v112
	ds_read_b128 v[93:96], v80 offset:3840
	ds_read_b128 v[97:100], v80 offset:4096
	s_waitcnt lgkmcnt(3)
	v_dot2c_f32_f16 v69, v113, v89
	v_dot2c_f32_f16 v70, v113, v90
	;; [unrolled: 1-line block ×16, first 2 shown]
	s_waitcnt lgkmcnt(2)
	v_dot2c_f32_f16 v79, v113, v85
	v_dot2c_f32_f16 v76, v113, v86
	v_dot2c_f32_f16 v44, v113, v87
	v_dot2c_f32_f16 v45, v113, v88
	v_dot2c_f32_f16 v77, v114, v85
	v_dot2c_f32_f16 v73, v114, v86
	v_dot2c_f32_f16 v42, v114, v87
	v_dot2c_f32_f16 v43, v114, v88
	v_dot2c_f32_f16 v72, v115, v85
	v_dot2c_f32_f16 v67, v115, v86
	v_dot2c_f32_f16 v36, v115, v87
	v_dot2c_f32_f16 v39, v115, v88
	v_dot2c_f32_f16 v65, v116, v85
	v_dot2c_f32_f16 v60, v116, v86
	v_dot2c_f32_f16 v34, v116, v87
	v_dot2c_f32_f16 v35, v116, v88
	s_waitcnt lgkmcnt(1)
	v_dot2c_f32_f16 v61, v93, v89
	v_dot2c_f32_f16 v62, v93, v90
	;; [unrolled: 1-line block ×15, first 2 shown]
	ds_read_b128 v[101:104], v81 offset:20480
	v_dot2c_f32_f16 v32, v96, v92
	v_dot2c_f32_f16 v78, v93, v85
	;; [unrolled: 1-line block ×15, first 2 shown]
	ds_read_b128 v[89:92], v81 offset:20736
	v_dot2c_f32_f16 v33, v96, v87
	v_dot2c_f32_f16 v24, v96, v88
	ds_read_b128 v[85:88], v80 offset:4352
	ds_read_b128 v[93:96], v80 offset:4608
	s_waitcnt lgkmcnt(3)
	v_dot2c_f32_f16 v69, v97, v101
	v_dot2c_f32_f16 v70, v97, v102
	;; [unrolled: 1-line block ×16, first 2 shown]
	s_waitcnt lgkmcnt(2)
	v_dot2c_f32_f16 v79, v97, v89
	v_dot2c_f32_f16 v76, v97, v90
	;; [unrolled: 1-line block ×16, first 2 shown]
	s_waitcnt lgkmcnt(1)
	v_dot2c_f32_f16 v61, v85, v101
	v_dot2c_f32_f16 v62, v85, v102
	;; [unrolled: 1-line block ×15, first 2 shown]
	ds_read_b128 v[97:100], v81 offset:20992
	v_dot2c_f32_f16 v32, v88, v104
	v_dot2c_f32_f16 v78, v85, v89
	;; [unrolled: 1-line block ×15, first 2 shown]
	ds_read_b128 v[101:104], v81 offset:21248
	v_dot2c_f32_f16 v33, v88, v91
	v_dot2c_f32_f16 v24, v88, v92
	ds_read_b128 v[85:88], v80 offset:4864
	ds_read_b128 v[89:92], v80 offset:5120
	s_waitcnt lgkmcnt(3)
	v_dot2c_f32_f16 v69, v93, v97
	v_dot2c_f32_f16 v70, v93, v98
	;; [unrolled: 1-line block ×16, first 2 shown]
	s_waitcnt lgkmcnt(2)
	v_dot2c_f32_f16 v79, v93, v101
	v_dot2c_f32_f16 v76, v93, v102
	;; [unrolled: 1-line block ×16, first 2 shown]
	s_waitcnt lgkmcnt(1)
	v_dot2c_f32_f16 v61, v85, v97
	v_dot2c_f32_f16 v62, v85, v98
	;; [unrolled: 1-line block ×15, first 2 shown]
	ds_read_b128 v[93:96], v81 offset:21504
	v_dot2c_f32_f16 v32, v88, v100
	v_dot2c_f32_f16 v78, v85, v101
	;; [unrolled: 1-line block ×15, first 2 shown]
	ds_read_b128 v[97:100], v81 offset:21760
	v_dot2c_f32_f16 v33, v88, v103
	v_dot2c_f32_f16 v24, v88, v104
	ds_read_b128 v[85:88], v80 offset:5376
	s_waitcnt lgkmcnt(2)
	v_dot2c_f32_f16 v69, v89, v93
	v_dot2c_f32_f16 v70, v89, v94
	;; [unrolled: 1-line block ×16, first 2 shown]
	s_waitcnt lgkmcnt(1)
	v_dot2c_f32_f16 v79, v89, v97
	v_dot2c_f32_f16 v76, v89, v98
	;; [unrolled: 1-line block ×16, first 2 shown]
	ds_read_b128 v[89:92], v80 offset:5632
	s_waitcnt lgkmcnt(1)
	v_dot2c_f32_f16 v61, v85, v93
	v_dot2c_f32_f16 v62, v85, v94
	;; [unrolled: 1-line block ×15, first 2 shown]
	ds_read_b128 v[101:104], v81 offset:22016
	v_dot2c_f32_f16 v32, v88, v96
	v_dot2c_f32_f16 v78, v85, v97
	;; [unrolled: 1-line block ×15, first 2 shown]
	ds_read_b128 v[93:96], v81 offset:22272
	v_dot2c_f32_f16 v33, v88, v99
	v_dot2c_f32_f16 v24, v88, v100
	ds_read_b128 v[85:88], v80 offset:5888
	s_waitcnt lgkmcnt(2)
	v_dot2c_f32_f16 v69, v89, v101
	v_dot2c_f32_f16 v70, v89, v102
	;; [unrolled: 1-line block ×16, first 2 shown]
	s_waitcnt lgkmcnt(1)
	v_dot2c_f32_f16 v79, v89, v93
	v_dot2c_f32_f16 v76, v89, v94
	;; [unrolled: 1-line block ×16, first 2 shown]
	ds_read_b128 v[89:92], v80 offset:6144
	s_waitcnt lgkmcnt(1)
	v_dot2c_f32_f16 v61, v85, v101
	v_dot2c_f32_f16 v62, v85, v102
	;; [unrolled: 1-line block ×15, first 2 shown]
	ds_read_b128 v[97:100], v81 offset:22528
	v_dot2c_f32_f16 v32, v88, v104
	v_dot2c_f32_f16 v78, v85, v93
	;; [unrolled: 1-line block ×15, first 2 shown]
	ds_read_b128 v[101:104], v81 offset:22784
	v_dot2c_f32_f16 v33, v88, v95
	v_dot2c_f32_f16 v24, v88, v96
	ds_read_b128 v[85:88], v80 offset:6400
	s_waitcnt lgkmcnt(2)
	v_dot2c_f32_f16 v69, v89, v97
	v_dot2c_f32_f16 v70, v89, v98
	;; [unrolled: 1-line block ×16, first 2 shown]
	s_waitcnt lgkmcnt(1)
	v_dot2c_f32_f16 v79, v89, v101
	v_dot2c_f32_f16 v76, v89, v102
	;; [unrolled: 1-line block ×16, first 2 shown]
	ds_read_b128 v[89:92], v80 offset:6656
	s_waitcnt lgkmcnt(1)
	v_dot2c_f32_f16 v61, v85, v97
	v_dot2c_f32_f16 v62, v85, v98
	;; [unrolled: 1-line block ×15, first 2 shown]
	ds_read_b128 v[93:96], v81 offset:23040
	v_dot2c_f32_f16 v32, v88, v100
	v_dot2c_f32_f16 v78, v85, v101
	;; [unrolled: 1-line block ×15, first 2 shown]
	ds_read_b128 v[97:100], v81 offset:23296
	v_dot2c_f32_f16 v33, v88, v103
	v_dot2c_f32_f16 v24, v88, v104
	ds_read_b128 v[85:88], v80 offset:6912
	s_waitcnt lgkmcnt(2)
	v_dot2c_f32_f16 v69, v89, v93
	v_dot2c_f32_f16 v70, v89, v94
	;; [unrolled: 1-line block ×16, first 2 shown]
	s_waitcnt lgkmcnt(1)
	v_dot2c_f32_f16 v79, v89, v97
	v_dot2c_f32_f16 v76, v89, v98
	;; [unrolled: 1-line block ×16, first 2 shown]
	ds_read_b128 v[89:92], v80 offset:7168
	s_waitcnt lgkmcnt(1)
	v_dot2c_f32_f16 v61, v85, v93
	v_dot2c_f32_f16 v62, v85, v94
	v_dot2c_f32_f16 v16, v85, v95
	v_dot2c_f32_f16 v17, v85, v96
	v_dot2c_f32_f16 v55, v86, v93
	v_dot2c_f32_f16 v57, v86, v94
	v_dot2c_f32_f16 v20, v86, v95
	v_dot2c_f32_f16 v21, v86, v96
	v_dot2c_f32_f16 v50, v87, v93
	v_dot2c_f32_f16 v51, v87, v94
	v_dot2c_f32_f16 v25, v87, v95
	v_dot2c_f32_f16 v26, v87, v96
	v_dot2c_f32_f16 v48, v88, v93
	v_dot2c_f32_f16 v49, v88, v94
	v_dot2c_f32_f16 v31, v88, v95
	ds_read_b128 v[101:104], v81 offset:23552
	v_dot2c_f32_f16 v32, v88, v96
	v_dot2c_f32_f16 v78, v85, v97
	;; [unrolled: 1-line block ×15, first 2 shown]
	ds_read_b128 v[93:96], v81 offset:23808
	v_dot2c_f32_f16 v33, v88, v99
	v_dot2c_f32_f16 v24, v88, v100
	ds_read_b128 v[85:88], v80 offset:7424
	s_waitcnt vmcnt(3)
	v_cndmask_b32_e64 v13, 0, v13, s3
	v_cndmask_b32_e64 v12, 0, v12, s3
	s_waitcnt lgkmcnt(2)
	v_dot2c_f32_f16 v69, v89, v101
	v_dot2c_f32_f16 v70, v89, v102
	;; [unrolled: 1-line block ×16, first 2 shown]
	s_waitcnt lgkmcnt(1)
	v_dot2c_f32_f16 v79, v89, v93
	v_dot2c_f32_f16 v76, v89, v94
	;; [unrolled: 1-line block ×16, first 2 shown]
	ds_read_b128 v[89:92], v80 offset:7680
	s_waitcnt lgkmcnt(1)
	v_dot2c_f32_f16 v61, v85, v101
	v_dot2c_f32_f16 v62, v85, v102
	;; [unrolled: 1-line block ×15, first 2 shown]
	ds_read_b128 v[97:100], v81 offset:24064
	v_dot2c_f32_f16 v32, v88, v104
	v_dot2c_f32_f16 v78, v85, v93
	;; [unrolled: 1-line block ×15, first 2 shown]
	ds_read_b128 v[101:104], v81 offset:24320
	v_dot2c_f32_f16 v33, v88, v95
	v_dot2c_f32_f16 v24, v88, v96
	ds_read_b128 v[85:88], v80 offset:7936
	v_cndmask_b32_e64 v15, 0, v15, s3
	v_cndmask_b32_e64 v14, 0, v14, s3
	s_waitcnt vmcnt(2)
	v_cndmask_b32_e64 v9, 0, v9, s2
	v_cndmask_b32_e64 v8, 0, v8, s2
	;; [unrolled: 1-line block ×4, first 2 shown]
	s_waitcnt vmcnt(1)
	v_cndmask_b32_e64 v7, 0, v7, s1
	v_cndmask_b32_e64 v6, 0, v6, s1
	;; [unrolled: 1-line block ×4, first 2 shown]
	s_waitcnt vmcnt(0)
	v_cndmask_b32_e32 v3, 0, v3, vcc_lo
	v_cndmask_b32_e32 v2, 0, v2, vcc_lo
	v_cndmask_b32_e32 v1, 0, v1, vcc_lo
	v_cndmask_b32_e32 v0, 0, v0, vcc_lo
	ds_write2st64_b32 v84, v12, v13 offset0:32 offset1:34
	ds_write2st64_b32 v84, v14, v15 offset0:36 offset1:38
	;; [unrolled: 1-line block ×8, first 2 shown]
	s_waitcnt lgkmcnt(0)
	s_barrier
	ds_read_b128 v[0:3], v80 offset:8192
	ds_read_b128 v[4:7], v81 offset:24576
	;; [unrolled: 1-line block ×4, first 2 shown]
	v_dot2c_f32_f16 v69, v89, v97
	v_dot2c_f32_f16 v70, v89, v98
	;; [unrolled: 1-line block ×64, first 2 shown]
	s_waitcnt lgkmcnt(2)
	v_dot2c_f32_f16 v69, v0, v4
	v_dot2c_f32_f16 v70, v0, v5
	;; [unrolled: 1-line block ×16, first 2 shown]
	ds_read_b128 v[84:87], v81 offset:25088
	s_waitcnt lgkmcnt(2)
	v_dot2c_f32_f16 v79, v0, v8
	v_dot2c_f32_f16 v76, v0, v9
	;; [unrolled: 1-line block ×16, first 2 shown]
	ds_read_b128 v[0:3], v80 offset:8704
	s_waitcnt lgkmcnt(2)
	v_dot2c_f32_f16 v61, v12, v4
	v_dot2c_f32_f16 v62, v12, v5
	;; [unrolled: 1-line block ×30, first 2 shown]
	ds_read_b128 v[4:7], v81 offset:25344
	v_dot2c_f32_f16 v33, v15, v10
	v_dot2c_f32_f16 v24, v15, v11
	ds_read_b128 v[8:11], v80 offset:8960
	s_waitcnt lgkmcnt(2)
	v_dot2c_f32_f16 v69, v0, v84
	v_dot2c_f32_f16 v70, v0, v85
	v_dot2c_f32_f16 v46, v0, v86
	v_dot2c_f32_f16 v47, v0, v87
	v_dot2c_f32_f16 v63, v1, v84
	v_dot2c_f32_f16 v64, v1, v85
	v_dot2c_f32_f16 v40, v1, v86
	v_dot2c_f32_f16 v41, v1, v87
	v_dot2c_f32_f16 v56, v2, v84
	v_dot2c_f32_f16 v59, v2, v85
	v_dot2c_f32_f16 v37, v2, v86
	v_dot2c_f32_f16 v38, v2, v87
	v_dot2c_f32_f16 v52, v3, v84
	v_dot2c_f32_f16 v53, v3, v85
	v_dot2c_f32_f16 v27, v3, v86
	v_dot2c_f32_f16 v28, v3, v87
	ds_read_b128 v[12:15], v81 offset:25600
	s_waitcnt lgkmcnt(2)
	v_dot2c_f32_f16 v79, v0, v4
	v_dot2c_f32_f16 v76, v0, v5
	v_dot2c_f32_f16 v44, v0, v6
	v_dot2c_f32_f16 v45, v0, v7
	v_dot2c_f32_f16 v77, v1, v4
	v_dot2c_f32_f16 v73, v1, v5
	v_dot2c_f32_f16 v42, v1, v6
	v_dot2c_f32_f16 v43, v1, v7
	v_dot2c_f32_f16 v72, v2, v4
	v_dot2c_f32_f16 v67, v2, v5
	v_dot2c_f32_f16 v36, v2, v6
	v_dot2c_f32_f16 v39, v2, v7
	v_dot2c_f32_f16 v65, v3, v4
	v_dot2c_f32_f16 v60, v3, v5
	;; [unrolled: 18-line block ×3, first 2 shown]
	v_dot2c_f32_f16 v31, v11, v86
	v_dot2c_f32_f16 v32, v11, v87
	;; [unrolled: 1-line block ×16, first 2 shown]
	ds_read_b128 v[84:87], v81 offset:25856
	v_dot2c_f32_f16 v33, v11, v6
	v_dot2c_f32_f16 v24, v11, v7
	ds_read_b128 v[4:7], v80 offset:9472
	s_waitcnt lgkmcnt(2)
	v_dot2c_f32_f16 v69, v0, v12
	v_dot2c_f32_f16 v70, v0, v13
	v_dot2c_f32_f16 v46, v0, v14
	v_dot2c_f32_f16 v47, v0, v15
	v_dot2c_f32_f16 v63, v1, v12
	v_dot2c_f32_f16 v64, v1, v13
	v_dot2c_f32_f16 v40, v1, v14
	v_dot2c_f32_f16 v41, v1, v15
	v_dot2c_f32_f16 v56, v2, v12
	v_dot2c_f32_f16 v59, v2, v13
	v_dot2c_f32_f16 v37, v2, v14
	v_dot2c_f32_f16 v38, v2, v15
	v_dot2c_f32_f16 v52, v3, v12
	v_dot2c_f32_f16 v53, v3, v13
	v_dot2c_f32_f16 v27, v3, v14
	v_dot2c_f32_f16 v28, v3, v15
	ds_read_b128 v[8:11], v81 offset:26112
	s_waitcnt lgkmcnt(2)
	v_dot2c_f32_f16 v79, v0, v84
	v_dot2c_f32_f16 v76, v0, v85
	v_dot2c_f32_f16 v44, v0, v86
	v_dot2c_f32_f16 v45, v0, v87
	v_dot2c_f32_f16 v77, v1, v84
	v_dot2c_f32_f16 v73, v1, v85
	v_dot2c_f32_f16 v42, v1, v86
	v_dot2c_f32_f16 v43, v1, v87
	v_dot2c_f32_f16 v72, v2, v84
	v_dot2c_f32_f16 v67, v2, v85
	v_dot2c_f32_f16 v36, v2, v86
	v_dot2c_f32_f16 v39, v2, v87
	v_dot2c_f32_f16 v65, v3, v84
	v_dot2c_f32_f16 v60, v3, v85
	;; [unrolled: 18-line block ×3, first 2 shown]
	v_dot2c_f32_f16 v31, v7, v14
	v_dot2c_f32_f16 v32, v7, v15
	;; [unrolled: 1-line block ×16, first 2 shown]
	ds_read_b128 v[12:15], v81 offset:26368
	v_dot2c_f32_f16 v33, v7, v86
	v_dot2c_f32_f16 v24, v7, v87
	ds_read_b128 v[4:7], v80 offset:9984
	s_waitcnt lgkmcnt(2)
	v_dot2c_f32_f16 v69, v0, v8
	v_dot2c_f32_f16 v70, v0, v9
	v_dot2c_f32_f16 v46, v0, v10
	v_dot2c_f32_f16 v47, v0, v11
	v_dot2c_f32_f16 v63, v1, v8
	v_dot2c_f32_f16 v64, v1, v9
	v_dot2c_f32_f16 v40, v1, v10
	v_dot2c_f32_f16 v41, v1, v11
	v_dot2c_f32_f16 v56, v2, v8
	v_dot2c_f32_f16 v59, v2, v9
	v_dot2c_f32_f16 v37, v2, v10
	v_dot2c_f32_f16 v38, v2, v11
	v_dot2c_f32_f16 v52, v3, v8
	v_dot2c_f32_f16 v53, v3, v9
	v_dot2c_f32_f16 v27, v3, v10
	v_dot2c_f32_f16 v28, v3, v11
	ds_read_b128 v[84:87], v81 offset:26624
	s_waitcnt lgkmcnt(2)
	v_dot2c_f32_f16 v79, v0, v12
	v_dot2c_f32_f16 v76, v0, v13
	v_dot2c_f32_f16 v44, v0, v14
	v_dot2c_f32_f16 v45, v0, v15
	v_dot2c_f32_f16 v77, v1, v12
	v_dot2c_f32_f16 v73, v1, v13
	v_dot2c_f32_f16 v42, v1, v14
	v_dot2c_f32_f16 v43, v1, v15
	v_dot2c_f32_f16 v72, v2, v12
	v_dot2c_f32_f16 v67, v2, v13
	v_dot2c_f32_f16 v36, v2, v14
	v_dot2c_f32_f16 v39, v2, v15
	v_dot2c_f32_f16 v65, v3, v12
	v_dot2c_f32_f16 v60, v3, v13
	;; [unrolled: 18-line block ×3, first 2 shown]
	v_dot2c_f32_f16 v31, v7, v10
	v_dot2c_f32_f16 v32, v7, v11
	;; [unrolled: 1-line block ×16, first 2 shown]
	ds_read_b128 v[8:11], v81 offset:26880
	v_dot2c_f32_f16 v33, v7, v14
	v_dot2c_f32_f16 v24, v7, v15
	ds_read_b128 v[4:7], v80 offset:10496
	s_waitcnt lgkmcnt(2)
	v_dot2c_f32_f16 v69, v0, v84
	v_dot2c_f32_f16 v70, v0, v85
	v_dot2c_f32_f16 v46, v0, v86
	v_dot2c_f32_f16 v47, v0, v87
	v_dot2c_f32_f16 v63, v1, v84
	v_dot2c_f32_f16 v64, v1, v85
	v_dot2c_f32_f16 v40, v1, v86
	v_dot2c_f32_f16 v41, v1, v87
	v_dot2c_f32_f16 v56, v2, v84
	v_dot2c_f32_f16 v59, v2, v85
	v_dot2c_f32_f16 v37, v2, v86
	v_dot2c_f32_f16 v38, v2, v87
	v_dot2c_f32_f16 v52, v3, v84
	v_dot2c_f32_f16 v53, v3, v85
	v_dot2c_f32_f16 v27, v3, v86
	v_dot2c_f32_f16 v28, v3, v87
	ds_read_b128 v[12:15], v81 offset:27136
	s_waitcnt lgkmcnt(2)
	v_dot2c_f32_f16 v79, v0, v8
	v_dot2c_f32_f16 v76, v0, v9
	v_dot2c_f32_f16 v44, v0, v10
	v_dot2c_f32_f16 v45, v0, v11
	v_dot2c_f32_f16 v77, v1, v8
	v_dot2c_f32_f16 v73, v1, v9
	v_dot2c_f32_f16 v42, v1, v10
	v_dot2c_f32_f16 v43, v1, v11
	v_dot2c_f32_f16 v72, v2, v8
	v_dot2c_f32_f16 v67, v2, v9
	v_dot2c_f32_f16 v36, v2, v10
	v_dot2c_f32_f16 v39, v2, v11
	v_dot2c_f32_f16 v65, v3, v8
	v_dot2c_f32_f16 v60, v3, v9
	;; [unrolled: 18-line block ×3, first 2 shown]
	v_dot2c_f32_f16 v31, v7, v86
	v_dot2c_f32_f16 v32, v7, v87
	;; [unrolled: 1-line block ×16, first 2 shown]
	ds_read_b128 v[84:87], v81 offset:27392
	v_dot2c_f32_f16 v33, v7, v10
	v_dot2c_f32_f16 v24, v7, v11
	ds_read_b128 v[4:7], v80 offset:11008
	s_waitcnt lgkmcnt(2)
	v_dot2c_f32_f16 v69, v0, v12
	v_dot2c_f32_f16 v70, v0, v13
	v_dot2c_f32_f16 v46, v0, v14
	v_dot2c_f32_f16 v47, v0, v15
	v_dot2c_f32_f16 v63, v1, v12
	v_dot2c_f32_f16 v64, v1, v13
	v_dot2c_f32_f16 v40, v1, v14
	v_dot2c_f32_f16 v41, v1, v15
	v_dot2c_f32_f16 v56, v2, v12
	v_dot2c_f32_f16 v59, v2, v13
	v_dot2c_f32_f16 v37, v2, v14
	v_dot2c_f32_f16 v38, v2, v15
	v_dot2c_f32_f16 v52, v3, v12
	v_dot2c_f32_f16 v53, v3, v13
	v_dot2c_f32_f16 v27, v3, v14
	v_dot2c_f32_f16 v28, v3, v15
	ds_read_b128 v[8:11], v81 offset:27648
	s_waitcnt lgkmcnt(2)
	v_dot2c_f32_f16 v79, v0, v84
	v_dot2c_f32_f16 v76, v0, v85
	v_dot2c_f32_f16 v44, v0, v86
	v_dot2c_f32_f16 v45, v0, v87
	v_dot2c_f32_f16 v77, v1, v84
	v_dot2c_f32_f16 v73, v1, v85
	v_dot2c_f32_f16 v42, v1, v86
	v_dot2c_f32_f16 v43, v1, v87
	v_dot2c_f32_f16 v72, v2, v84
	v_dot2c_f32_f16 v67, v2, v85
	v_dot2c_f32_f16 v36, v2, v86
	v_dot2c_f32_f16 v39, v2, v87
	v_dot2c_f32_f16 v65, v3, v84
	v_dot2c_f32_f16 v60, v3, v85
	;; [unrolled: 18-line block ×3, first 2 shown]
	v_dot2c_f32_f16 v31, v7, v14
	v_dot2c_f32_f16 v32, v7, v15
	;; [unrolled: 1-line block ×16, first 2 shown]
	ds_read_b128 v[12:15], v81 offset:27904
	v_dot2c_f32_f16 v33, v7, v86
	v_dot2c_f32_f16 v24, v7, v87
	ds_read_b128 v[4:7], v80 offset:11520
	s_waitcnt lgkmcnt(2)
	v_dot2c_f32_f16 v69, v0, v8
	v_dot2c_f32_f16 v70, v0, v9
	v_dot2c_f32_f16 v46, v0, v10
	v_dot2c_f32_f16 v47, v0, v11
	v_dot2c_f32_f16 v63, v1, v8
	v_dot2c_f32_f16 v64, v1, v9
	v_dot2c_f32_f16 v40, v1, v10
	v_dot2c_f32_f16 v41, v1, v11
	v_dot2c_f32_f16 v56, v2, v8
	v_dot2c_f32_f16 v59, v2, v9
	v_dot2c_f32_f16 v37, v2, v10
	v_dot2c_f32_f16 v38, v2, v11
	v_dot2c_f32_f16 v52, v3, v8
	v_dot2c_f32_f16 v53, v3, v9
	v_dot2c_f32_f16 v27, v3, v10
	v_dot2c_f32_f16 v28, v3, v11
	ds_read_b128 v[84:87], v81 offset:28160
	s_waitcnt lgkmcnt(2)
	v_dot2c_f32_f16 v79, v0, v12
	v_dot2c_f32_f16 v76, v0, v13
	v_dot2c_f32_f16 v44, v0, v14
	v_dot2c_f32_f16 v45, v0, v15
	v_dot2c_f32_f16 v77, v1, v12
	v_dot2c_f32_f16 v73, v1, v13
	v_dot2c_f32_f16 v42, v1, v14
	v_dot2c_f32_f16 v43, v1, v15
	v_dot2c_f32_f16 v72, v2, v12
	v_dot2c_f32_f16 v67, v2, v13
	v_dot2c_f32_f16 v36, v2, v14
	v_dot2c_f32_f16 v39, v2, v15
	v_dot2c_f32_f16 v65, v3, v12
	v_dot2c_f32_f16 v60, v3, v13
	;; [unrolled: 18-line block ×3, first 2 shown]
	v_dot2c_f32_f16 v31, v7, v10
	v_dot2c_f32_f16 v32, v7, v11
	;; [unrolled: 1-line block ×16, first 2 shown]
	ds_read_b128 v[8:11], v81 offset:28416
	v_dot2c_f32_f16 v33, v7, v14
	v_dot2c_f32_f16 v24, v7, v15
	ds_read_b128 v[4:7], v80 offset:12032
	s_waitcnt lgkmcnt(2)
	v_dot2c_f32_f16 v69, v0, v84
	v_dot2c_f32_f16 v70, v0, v85
	v_dot2c_f32_f16 v46, v0, v86
	v_dot2c_f32_f16 v47, v0, v87
	v_dot2c_f32_f16 v63, v1, v84
	v_dot2c_f32_f16 v64, v1, v85
	v_dot2c_f32_f16 v40, v1, v86
	v_dot2c_f32_f16 v41, v1, v87
	v_dot2c_f32_f16 v56, v2, v84
	v_dot2c_f32_f16 v59, v2, v85
	v_dot2c_f32_f16 v37, v2, v86
	v_dot2c_f32_f16 v38, v2, v87
	v_dot2c_f32_f16 v52, v3, v84
	v_dot2c_f32_f16 v53, v3, v85
	v_dot2c_f32_f16 v27, v3, v86
	v_dot2c_f32_f16 v28, v3, v87
	ds_read_b128 v[12:15], v81 offset:28672
	s_waitcnt lgkmcnt(2)
	v_dot2c_f32_f16 v79, v0, v8
	v_dot2c_f32_f16 v76, v0, v9
	v_dot2c_f32_f16 v44, v0, v10
	v_dot2c_f32_f16 v45, v0, v11
	v_dot2c_f32_f16 v77, v1, v8
	v_dot2c_f32_f16 v73, v1, v9
	v_dot2c_f32_f16 v42, v1, v10
	v_dot2c_f32_f16 v43, v1, v11
	v_dot2c_f32_f16 v72, v2, v8
	v_dot2c_f32_f16 v67, v2, v9
	v_dot2c_f32_f16 v36, v2, v10
	v_dot2c_f32_f16 v39, v2, v11
	v_dot2c_f32_f16 v65, v3, v8
	v_dot2c_f32_f16 v60, v3, v9
	;; [unrolled: 18-line block ×3, first 2 shown]
	v_dot2c_f32_f16 v31, v7, v86
	v_dot2c_f32_f16 v32, v7, v87
	;; [unrolled: 1-line block ×16, first 2 shown]
	ds_read_b128 v[84:87], v81 offset:28928
	v_dot2c_f32_f16 v33, v7, v10
	v_dot2c_f32_f16 v24, v7, v11
	ds_read_b128 v[4:7], v80 offset:12544
	s_waitcnt lgkmcnt(2)
	v_dot2c_f32_f16 v69, v0, v12
	v_dot2c_f32_f16 v70, v0, v13
	v_dot2c_f32_f16 v46, v0, v14
	v_dot2c_f32_f16 v47, v0, v15
	v_dot2c_f32_f16 v63, v1, v12
	v_dot2c_f32_f16 v64, v1, v13
	v_dot2c_f32_f16 v40, v1, v14
	v_dot2c_f32_f16 v41, v1, v15
	v_dot2c_f32_f16 v56, v2, v12
	v_dot2c_f32_f16 v59, v2, v13
	v_dot2c_f32_f16 v37, v2, v14
	v_dot2c_f32_f16 v38, v2, v15
	v_dot2c_f32_f16 v52, v3, v12
	v_dot2c_f32_f16 v53, v3, v13
	v_dot2c_f32_f16 v27, v3, v14
	v_dot2c_f32_f16 v28, v3, v15
	ds_read_b128 v[8:11], v81 offset:29184
	s_waitcnt lgkmcnt(2)
	v_dot2c_f32_f16 v79, v0, v84
	v_dot2c_f32_f16 v76, v0, v85
	v_dot2c_f32_f16 v44, v0, v86
	v_dot2c_f32_f16 v45, v0, v87
	v_dot2c_f32_f16 v77, v1, v84
	v_dot2c_f32_f16 v73, v1, v85
	v_dot2c_f32_f16 v42, v1, v86
	v_dot2c_f32_f16 v43, v1, v87
	v_dot2c_f32_f16 v72, v2, v84
	v_dot2c_f32_f16 v67, v2, v85
	v_dot2c_f32_f16 v36, v2, v86
	v_dot2c_f32_f16 v39, v2, v87
	v_dot2c_f32_f16 v65, v3, v84
	v_dot2c_f32_f16 v60, v3, v85
	;; [unrolled: 18-line block ×3, first 2 shown]
	v_dot2c_f32_f16 v31, v7, v14
	v_dot2c_f32_f16 v32, v7, v15
	v_dot2c_f32_f16 v78, v4, v84
	v_dot2c_f32_f16 v75, v4, v85
	v_dot2c_f32_f16 v18, v4, v86
	v_dot2c_f32_f16 v19, v4, v87
	v_dot2c_f32_f16 v74, v5, v84
	v_dot2c_f32_f16 v71, v5, v85
	v_dot2c_f32_f16 v22, v5, v86
	v_dot2c_f32_f16 v23, v5, v87
	v_dot2c_f32_f16 v66, v6, v84
	v_dot2c_f32_f16 v68, v6, v85
	v_dot2c_f32_f16 v29, v6, v86
	v_dot2c_f32_f16 v30, v6, v87
	v_dot2c_f32_f16 v58, v7, v84
	v_dot2c_f32_f16 v54, v7, v85
	ds_read_b128 v[12:15], v81 offset:29440
	v_dot2c_f32_f16 v33, v7, v86
	v_dot2c_f32_f16 v24, v7, v87
	ds_read_b128 v[4:7], v80 offset:13056
	s_waitcnt lgkmcnt(2)
	v_dot2c_f32_f16 v69, v0, v8
	v_dot2c_f32_f16 v70, v0, v9
	v_dot2c_f32_f16 v46, v0, v10
	v_dot2c_f32_f16 v47, v0, v11
	v_dot2c_f32_f16 v63, v1, v8
	v_dot2c_f32_f16 v64, v1, v9
	v_dot2c_f32_f16 v40, v1, v10
	v_dot2c_f32_f16 v41, v1, v11
	v_dot2c_f32_f16 v56, v2, v8
	v_dot2c_f32_f16 v59, v2, v9
	v_dot2c_f32_f16 v37, v2, v10
	v_dot2c_f32_f16 v38, v2, v11
	v_dot2c_f32_f16 v52, v3, v8
	v_dot2c_f32_f16 v53, v3, v9
	v_dot2c_f32_f16 v27, v3, v10
	v_dot2c_f32_f16 v28, v3, v11
	ds_read_b128 v[84:87], v81 offset:29696
	s_waitcnt lgkmcnt(2)
	v_dot2c_f32_f16 v79, v0, v12
	v_dot2c_f32_f16 v76, v0, v13
	v_dot2c_f32_f16 v44, v0, v14
	v_dot2c_f32_f16 v45, v0, v15
	v_dot2c_f32_f16 v77, v1, v12
	v_dot2c_f32_f16 v73, v1, v13
	v_dot2c_f32_f16 v42, v1, v14
	v_dot2c_f32_f16 v43, v1, v15
	v_dot2c_f32_f16 v72, v2, v12
	v_dot2c_f32_f16 v67, v2, v13
	v_dot2c_f32_f16 v36, v2, v14
	v_dot2c_f32_f16 v39, v2, v15
	v_dot2c_f32_f16 v65, v3, v12
	v_dot2c_f32_f16 v60, v3, v13
	;; [unrolled: 18-line block ×3, first 2 shown]
	v_dot2c_f32_f16 v31, v7, v10
	v_dot2c_f32_f16 v32, v7, v11
	ds_read_b128 v[8:11], v81 offset:29952
	ds_read_b128 v[88:91], v80 offset:13568
	v_dot2c_f32_f16 v78, v4, v12
	v_dot2c_f32_f16 v75, v4, v13
	;; [unrolled: 1-line block ×16, first 2 shown]
	s_waitcnt lgkmcnt(2)
	v_dot2c_f32_f16 v69, v0, v84
	v_dot2c_f32_f16 v70, v0, v85
	;; [unrolled: 1-line block ×16, first 2 shown]
	ds_read_b128 v[12:15], v81 offset:30208
	s_waitcnt lgkmcnt(2)
	v_dot2c_f32_f16 v79, v0, v8
	v_dot2c_f32_f16 v76, v0, v9
	;; [unrolled: 1-line block ×16, first 2 shown]
	ds_read_b128 v[0:3], v80 offset:13824
	s_waitcnt lgkmcnt(2)
	v_dot2c_f32_f16 v78, v88, v8
	v_dot2c_f32_f16 v75, v88, v9
	;; [unrolled: 1-line block ×14, first 2 shown]
	ds_read_b128 v[4:7], v81 offset:30464
	v_dot2c_f32_f16 v33, v91, v10
	v_dot2c_f32_f16 v24, v91, v11
	ds_read_b128 v[8:11], v80 offset:14080
	v_dot2c_f32_f16 v61, v88, v84
	v_dot2c_f32_f16 v55, v89, v84
	v_dot2c_f32_f16 v50, v90, v84
	v_dot2c_f32_f16 v48, v91, v84
	v_mul_lo_u32 v84, v83, s14
	v_dot2c_f32_f16 v62, v88, v85
	v_dot2c_f32_f16 v57, v89, v85
	;; [unrolled: 1-line block ×6, first 2 shown]
	s_waitcnt lgkmcnt(2)
	v_dot2c_f32_f16 v69, v0, v12
	v_mad_u64_u32 v[84:85], null, v82, s15, v[84:85]
	v_dot2c_f32_f16 v70, v0, v13
	v_dot2c_f32_f16 v46, v0, v14
	;; [unrolled: 1-line block ×15, first 2 shown]
	s_waitcnt lgkmcnt(1)
	v_dot2c_f32_f16 v79, v0, v4
	v_dot2c_f32_f16 v76, v0, v5
	;; [unrolled: 1-line block ×16, first 2 shown]
	ds_read_b128 v[0:3], v80 offset:14336
	s_waitcnt lgkmcnt(1)
	v_dot2c_f32_f16 v61, v8, v12
	v_dot2c_f32_f16 v62, v8, v13
	v_dot2c_f32_f16 v16, v8, v14
	v_dot2c_f32_f16 v17, v8, v15
	v_dot2c_f32_f16 v78, v8, v4
	v_dot2c_f32_f16 v75, v8, v5
	v_dot2c_f32_f16 v18, v8, v6
	v_dot2c_f32_f16 v19, v8, v7
	v_lshlrev_b32_e32 v8, 1, v84
	v_dot2c_f32_f16 v20, v89, v86
	v_dot2c_f32_f16 v21, v89, v87
	;; [unrolled: 1-line block ×4, first 2 shown]
	buffer_load_dwordx2 v[88:89], v8, s[20:23], 0 offen
	v_add_lshl_u32 v8, v84, s0, 1
	v_dot2c_f32_f16 v31, v91, v86
	v_dot2c_f32_f16 v32, v91, v87
	v_add_nc_u32_e32 v84, s14, v84
	v_dot2c_f32_f16 v55, v9, v12
	buffer_load_dwordx2 v[90:91], v8, s[20:23], 0 offen
	v_dot2c_f32_f16 v57, v9, v13
	v_dot2c_f32_f16 v20, v9, v14
	v_lshlrev_b32_e32 v85, 1, v84
	v_dot2c_f32_f16 v21, v9, v15
	v_dot2c_f32_f16 v50, v10, v12
	;; [unrolled: 1-line block ×4, first 2 shown]
	buffer_load_dwordx2 v[92:93], v85, s[20:23], 0 offen
	v_dot2c_f32_f16 v26, v10, v15
	v_dot2c_f32_f16 v48, v11, v12
	;; [unrolled: 1-line block ×5, first 2 shown]
	ds_read_b128 v[12:15], v81 offset:30720
	v_dot2c_f32_f16 v74, v9, v4
	v_dot2c_f32_f16 v71, v9, v5
	;; [unrolled: 1-line block ×12, first 2 shown]
	ds_read_b128 v[4:7], v81 offset:30976
	v_add_lshl_u32 v86, v84, s0, 1
	v_add_nc_u32_e32 v84, s14, v84
	v_cmp_gt_i32_e32 vcc_lo, s38, v82
	s_mov_b32 s15, s19
	buffer_load_dwordx2 v[94:95], v86, s[20:23], 0 offen
	v_lshlrev_b32_e32 v85, 1, v84
	v_add_lshl_u32 v86, v84, s0, 1
	v_add_nc_u32_e32 v84, s14, v84
	s_waitcnt lgkmcnt(1)
	v_dot2c_f32_f16 v69, v0, v12
	v_dot2c_f32_f16 v70, v0, v13
	s_clause 0x1
	buffer_load_dwordx2 v[96:97], v85, s[20:23], 0 offen
	buffer_load_dwordx2 v[98:99], v86, s[20:23], 0 offen
	v_dot2c_f32_f16 v46, v0, v14
	v_dot2c_f32_f16 v47, v0, v15
	v_add_lshl_u32 v85, v84, s0, 1
	v_dot2c_f32_f16 v63, v1, v12
	v_dot2c_f32_f16 v64, v1, v13
	;; [unrolled: 1-line block ×3, first 2 shown]
	s_waitcnt lgkmcnt(0)
	v_dot2c_f32_f16 v79, v0, v4
	v_dot2c_f32_f16 v76, v0, v5
	;; [unrolled: 1-line block ×4, first 2 shown]
	v_lshlrev_b32_e32 v0, 1, v84
	buffer_load_dwordx2 v[102:103], v85, s[20:23], 0 offen
	v_mad_u64_u32 v[84:85], null, s14, 61, v[84:85]
	v_dot2c_f32_f16 v41, v1, v15
	buffer_load_dwordx2 v[100:101], v0, s[20:23], 0 offen
	ds_read_b128 v[8:11], v80 offset:14592
	v_dot2c_f32_f16 v56, v2, v12
	v_dot2c_f32_f16 v59, v2, v13
	;; [unrolled: 1-line block ×3, first 2 shown]
	v_lshlrev_b32_e32 v85, 1, v84
	v_add_lshl_u32 v86, v84, s0, 1
	v_add_nc_u32_e32 v84, s14, v84
	v_dot2c_f32_f16 v38, v2, v15
	v_dot2c_f32_f16 v52, v3, v12
	s_clause 0x1
	buffer_load_dwordx2 v[104:105], v85, s[20:23], 0 offen
	buffer_load_dwordx2 v[106:107], v86, s[20:23], 0 offen
	v_dot2c_f32_f16 v53, v3, v13
	v_dot2c_f32_f16 v27, v3, v14
	v_dot2c_f32_f16 v28, v3, v15
	v_dot2c_f32_f16 v77, v1, v4
	v_dot2c_f32_f16 v73, v1, v5
	v_dot2c_f32_f16 v42, v1, v6
	v_dot2c_f32_f16 v43, v1, v7
	v_dot2c_f32_f16 v72, v2, v4
	v_dot2c_f32_f16 v67, v2, v5
	v_dot2c_f32_f16 v36, v2, v6
	v_dot2c_f32_f16 v39, v2, v7
	v_dot2c_f32_f16 v65, v3, v4
	v_dot2c_f32_f16 v60, v3, v5
	v_dot2c_f32_f16 v34, v3, v6
	v_dot2c_f32_f16 v35, v3, v7
	ds_read_b128 v[0:3], v80 offset:14848
	s_waitcnt lgkmcnt(1)
	v_dot2c_f32_f16 v61, v8, v12
	v_dot2c_f32_f16 v62, v8, v13
	v_dot2c_f32_f16 v16, v8, v14
	v_dot2c_f32_f16 v17, v8, v15
	v_dot2c_f32_f16 v55, v9, v12
	v_dot2c_f32_f16 v57, v9, v13
	v_dot2c_f32_f16 v20, v9, v14
	v_dot2c_f32_f16 v21, v9, v15
	v_dot2c_f32_f16 v78, v8, v4
	v_dot2c_f32_f16 v75, v8, v5
	v_dot2c_f32_f16 v18, v8, v6
	v_dot2c_f32_f16 v19, v8, v7
	v_dot2c_f32_f16 v74, v9, v4
	v_dot2c_f32_f16 v71, v9, v5
	v_dot2c_f32_f16 v22, v9, v6
	v_dot2c_f32_f16 v23, v9, v7
	v_lshlrev_b32_e32 v8, 1, v84
	v_add_lshl_u32 v9, v84, s0, 1
	v_dot2c_f32_f16 v50, v10, v12
	v_dot2c_f32_f16 v51, v10, v13
	;; [unrolled: 1-line block ×8, first 2 shown]
	ds_read_b128 v[12:15], v81 offset:31232
	v_dot2c_f32_f16 v66, v10, v4
	v_dot2c_f32_f16 v68, v10, v5
	;; [unrolled: 1-line block ×5, first 2 shown]
	s_clause 0x1
	buffer_load_dwordx2 v[108:109], v8, s[20:23], 0 offen
	buffer_load_dwordx2 v[110:111], v9, s[20:23], 0 offen
	v_dot2c_f32_f16 v54, v11, v5
	v_dot2c_f32_f16 v33, v11, v6
	;; [unrolled: 1-line block ×3, first 2 shown]
	ds_read_b128 v[4:7], v81 offset:31488
	ds_read_b128 v[8:11], v80 offset:15104
	v_add_nc_u32_e32 v84, s14, v84
	v_lshlrev_b32_e32 v85, 1, v84
	s_waitcnt lgkmcnt(2)
	v_dot2c_f32_f16 v69, v0, v12
	v_dot2c_f32_f16 v70, v0, v13
	buffer_load_dwordx2 v[112:113], v85, s[20:23], 0 offen
	v_add_lshl_u32 v85, v84, s0, 1
	v_add_nc_u32_e32 v84, s14, v84
	v_dot2c_f32_f16 v46, v0, v14
	v_dot2c_f32_f16 v47, v0, v15
	;; [unrolled: 1-line block ×3, first 2 shown]
	buffer_load_dwordx2 v[114:115], v85, s[20:23], 0 offen
	v_dot2c_f32_f16 v64, v1, v13
	s_waitcnt lgkmcnt(1)
	v_dot2c_f32_f16 v79, v0, v4
	v_dot2c_f32_f16 v76, v0, v5
	;; [unrolled: 1-line block ×4, first 2 shown]
	v_add_lshl_u32 v0, v84, s0, 1
	v_dot2c_f32_f16 v40, v1, v14
	v_dot2c_f32_f16 v41, v1, v15
	;; [unrolled: 1-line block ×4, first 2 shown]
	buffer_load_dwordx2 v[118:119], v0, s[20:23], 0 offen
	v_lshlrev_b32_e32 v85, 1, v84
	v_dot2c_f32_f16 v37, v2, v14
	v_dot2c_f32_f16 v38, v2, v15
	v_dot2c_f32_f16 v52, v3, v12
	v_dot2c_f32_f16 v53, v3, v13
	buffer_load_dwordx2 v[116:117], v85, s[20:23], 0 offen
	v_dot2c_f32_f16 v27, v3, v14
	v_dot2c_f32_f16 v28, v3, v15
	;; [unrolled: 1-line block ×14, first 2 shown]
	ds_read_b128 v[0:3], v80 offset:15360
	s_waitcnt lgkmcnt(1)
	v_dot2c_f32_f16 v61, v8, v12
	v_dot2c_f32_f16 v62, v8, v13
	;; [unrolled: 1-line block ×15, first 2 shown]
	ds_read_b128 v[84:87], v81 offset:31744
	v_dot2c_f32_f16 v32, v11, v15
	v_dot2c_f32_f16 v78, v8, v4
	;; [unrolled: 1-line block ×15, first 2 shown]
	ds_read_b128 v[12:15], v81 offset:32000
	v_dot2c_f32_f16 v33, v11, v6
	v_dot2c_f32_f16 v24, v11, v7
	ds_read_b128 v[4:7], v80 offset:15616
	s_waitcnt lgkmcnt(2)
	v_dot2c_f32_f16 v69, v0, v84
	v_dot2c_f32_f16 v70, v0, v85
	;; [unrolled: 1-line block ×16, first 2 shown]
	s_waitcnt lgkmcnt(1)
	v_dot2c_f32_f16 v79, v0, v12
	v_dot2c_f32_f16 v76, v0, v13
	;; [unrolled: 1-line block ×16, first 2 shown]
	ds_read_b128 v[0:3], v80 offset:15872
	s_waitcnt lgkmcnt(1)
	v_dot2c_f32_f16 v61, v4, v84
	v_dot2c_f32_f16 v62, v4, v85
	;; [unrolled: 1-line block ×15, first 2 shown]
	ds_read_b128 v[8:11], v81 offset:32256
	v_dot2c_f32_f16 v32, v7, v87
	v_dot2c_f32_f16 v78, v4, v12
	;; [unrolled: 1-line block ×17, first 2 shown]
	ds_read_b128 v[4:7], v80 offset:16128
	ds_read_b128 v[84:87], v81 offset:32512
	v_cmp_gt_i32_e64 s0, s33, v83
	s_waitcnt lgkmcnt(2)
	v_dot2c_f32_f16 v46, v0, v10
	v_dot2c_f32_f16 v40, v1, v10
	;; [unrolled: 1-line block ×4, first 2 shown]
	s_and_b32 s1, s0, vcc_lo
	v_dot2c_f32_f16 v69, v0, v8
	v_dot2c_f32_f16 v70, v0, v9
	;; [unrolled: 1-line block ×6, first 2 shown]
	v_or_b32_e32 v12, 1, v83
	v_dot2c_f32_f16 v64, v1, v9
	v_dot2c_f32_f16 v41, v1, v11
	;; [unrolled: 1-line block ×5, first 2 shown]
	s_waitcnt lgkmcnt(1)
	v_dot2c_f32_f16 v16, v4, v10
	v_dot2c_f32_f16 v20, v5, v10
	;; [unrolled: 1-line block ×4, first 2 shown]
	v_add_nc_u32_e32 v10, 64, v82
	s_waitcnt lgkmcnt(0)
	v_dot2c_f32_f16 v79, v0, v84
	v_dot2c_f32_f16 v76, v0, v85
	;; [unrolled: 1-line block ×17, first 2 shown]
	s_waitcnt vmcnt(15)
	v_cndmask_b32_e64 v8, 0, v89, s1
	v_cndmask_b32_e64 v0, 0, v88, s1
	v_cmp_gt_i32_e64 s1, s38, v10
	v_dot2c_f32_f16 v21, v5, v11
	v_dot2c_f32_f16 v26, v6, v11
	;; [unrolled: 1-line block ×3, first 2 shown]
	v_cvt_f32_f16_e32 v1, v0
	s_and_b32 s0, s0, s1
	v_cvt_f32_f16_sdwa v0, v0 dst_sel:DWORD dst_unused:UNUSED_PAD src0_sel:WORD_1
	s_waitcnt vmcnt(14)
	v_cndmask_b32_e64 v2, 0, v90, s0
	v_cndmask_b32_e64 v11, 0, v91, s0
	v_cmp_gt_i32_e64 s0, s33, v12
	v_dot2c_f32_f16 v53, v3, v9
	v_dot2c_f32_f16 v65, v3, v84
	;; [unrolled: 1-line block ×5, first 2 shown]
	v_add_f32_e32 v1, v69, v1
	v_add_f32_e32 v0, v70, v0
	v_cvt_f32_f16_e32 v3, v2
	s_and_b32 s2, s0, vcc_lo
	v_dot2c_f32_f16 v62, v4, v9
	v_dot2c_f32_f16 v57, v5, v9
	;; [unrolled: 1-line block ×4, first 2 shown]
	v_max_f32_e32 v9, 0, v1
	v_max_f32_e32 v13, 0, v0
	v_add_f32_e32 v0, v79, v3
	s_waitcnt vmcnt(13)
	v_cndmask_b32_e64 v1, 0, v92, s2
	v_or_b32_e32 v70, 2, v83
	s_and_b32 s0, s0, s1
	v_cvt_f32_f16_sdwa v2, v2 dst_sel:DWORD dst_unused:UNUSED_PAD src0_sel:WORD_1
	v_max_f32_e32 v69, 0, v0
	v_cvt_f32_f16_e32 v0, v1
	v_cvt_f32_f16_sdwa v1, v1 dst_sel:DWORD dst_unused:UNUSED_PAD src0_sel:WORD_1
	v_dot2c_f32_f16 v78, v4, v84
	v_dot2c_f32_f16 v75, v4, v85
	v_dot2c_f32_f16 v18, v4, v86
	v_add_f32_e32 v0, v63, v0
	s_waitcnt vmcnt(12)
	v_cndmask_b32_e64 v3, 0, v94, s0
	v_cndmask_b32_e64 v15, 0, v95, s0
	v_cmp_gt_i32_e64 s0, s33, v70
	v_add_f32_e32 v1, v64, v1
	v_dot2c_f32_f16 v19, v4, v87
	v_cvt_f32_f16_e32 v4, v3
	v_add_f32_e32 v2, v76, v2
	v_cndmask_b32_e64 v14, 0, v93, s2
	s_and_b32 s2, s0, vcc_lo
	v_max_f32_e32 v64, 0, v0
	v_max_f32_e32 v76, 0, v1
	v_cvt_f32_f16_sdwa v0, v3 dst_sel:DWORD dst_unused:UNUSED_PAD src0_sel:WORD_1
	s_waitcnt vmcnt(11)
	v_cndmask_b32_e64 v1, 0, v96, s2
	s_and_b32 s0, s0, s1
	v_or_b32_e32 v81, 3, v83
	v_add_f32_e32 v4, v77, v4
	v_max_f32_e32 v63, 0, v2
	s_waitcnt vmcnt(10)
	v_cndmask_b32_e64 v2, 0, v98, s0
	v_cndmask_b32_e64 v80, 0, v99, s0
	v_add_f32_e32 v0, v73, v0
	v_cvt_f32_f16_e32 v3, v1
	v_cmp_gt_i32_e64 s0, s33, v81
	v_max_f32_e32 v77, 0, v4
	v_cvt_f32_f16_sdwa v1, v1 dst_sel:DWORD dst_unused:UNUSED_PAD src0_sel:WORD_1
	v_cvt_f32_f16_e32 v4, v2
	v_cndmask_b32_e64 v79, 0, v97, s2
	v_max_f32_e32 v73, 0, v0
	v_add_f32_e32 v0, v56, v3
	s_and_b32 s2, s0, vcc_lo
	v_add_f32_e32 v1, v59, v1
	v_add_f32_e32 v3, v72, v4
	s_waitcnt vmcnt(8)
	v_cndmask_b32_e64 v4, 0, v100, s2
	v_max_f32_e32 v59, 0, v0
	s_and_b32 s0, s0, s1
	v_or_b32_e32 v0, 64, v83
	v_dot2c_f32_f16 v74, v5, v84
	v_dot2c_f32_f16 v66, v6, v84
	;; [unrolled: 1-line block ×3, first 2 shown]
	v_max_f32_e32 v72, 0, v1
	v_max_f32_e32 v84, 0, v3
	v_cvt_f32_f16_sdwa v1, v2 dst_sel:DWORD dst_unused:UNUSED_PAD src0_sel:WORD_1
	v_cvt_f32_f16_e32 v2, v4
	v_cvt_f32_f16_sdwa v3, v4 dst_sel:DWORD dst_unused:UNUSED_PAD src0_sel:WORD_1
	v_cndmask_b32_e64 v4, 0, v102, s0
	v_dot2c_f32_f16 v71, v5, v85
	v_dot2c_f32_f16 v68, v6, v85
	;; [unrolled: 1-line block ×3, first 2 shown]
	v_cndmask_b32_e64 v85, 0, v103, s0
	v_cmp_gt_i32_e64 s0, s33, v0
	v_dot2c_f32_f16 v22, v5, v86
	v_dot2c_f32_f16 v23, v5, v87
	v_cvt_f32_f16_e32 v5, v4
	v_cvt_f32_f16_sdwa v4, v4 dst_sel:DWORD dst_unused:UNUSED_PAD src0_sel:WORD_1
	v_add_f32_e32 v1, v67, v1
	v_add_f32_e32 v2, v52, v2
	v_cndmask_b32_e64 v56, 0, v101, s2
	s_and_b32 s2, s0, vcc_lo
	s_and_b32 s0, s0, s1
	v_dot2c_f32_f16 v33, v7, v86
	v_dot2c_f32_f16 v24, v7, v87
	s_waitcnt vmcnt(6)
	v_cndmask_b32_e64 v7, 0, v106, s0
	v_add_f32_e32 v60, v60, v4
	v_or_b32_e32 v4, 0x41, v83
	v_add_f32_e32 v3, v53, v3
	v_max_f32_e32 v52, 0, v1
	v_max_f32_e32 v53, 0, v2
	v_add_f32_e32 v1, v65, v5
	v_cndmask_b32_e64 v2, 0, v104, s2
	v_dot2c_f32_f16 v29, v6, v86
	v_dot2c_f32_f16 v30, v6, v87
	v_cndmask_b32_e64 v5, 0, v107, s0
	v_cvt_f32_f16_e32 v6, v7
	v_cmp_gt_i32_e64 s0, s33, v4
	v_cvt_f32_f16_sdwa v7, v7 dst_sel:DWORD dst_unused:UNUSED_PAD src0_sel:WORD_1
	v_max_f32_e32 v65, 0, v1
	v_cvt_f32_f16_e32 v1, v2
	v_cvt_f32_f16_sdwa v2, v2 dst_sel:DWORD dst_unused:UNUSED_PAD src0_sel:WORD_1
	v_max_f32_e32 v67, 0, v3
	v_cndmask_b32_e64 v3, 0, v105, s2
	s_and_b32 s2, s0, vcc_lo
	v_add_f32_e32 v7, v75, v7
	v_or_b32_e32 v75, 0x42, v83
	v_add_f32_e32 v2, v62, v2
	s_waitcnt vmcnt(5)
	v_cndmask_b32_e64 v62, 0, v108, s2
	s_and_b32 s0, s0, s1
	v_add_f32_e32 v6, v78, v6
	s_waitcnt vmcnt(4)
	v_cndmask_b32_e64 v78, 0, v111, s0
	v_cndmask_b32_e64 v86, 0, v110, s0
	v_cmp_gt_i32_e64 s0, s33, v75
	v_cvt_f32_f16_e32 v87, v62
	v_cvt_f32_f16_sdwa v62, v62 dst_sel:DWORD dst_unused:UNUSED_PAD src0_sel:WORD_1
	v_add_f32_e32 v1, v61, v1
	v_cndmask_b32_e64 v61, 0, v109, s2
	s_and_b32 s2, s0, vcc_lo
	v_cvt_f32_f16_e32 v88, v86
	v_max_f32_e32 v89, 0, v7
	v_add_f32_e32 v7, v55, v87
	v_add_f32_e32 v55, v57, v62
	v_cvt_f32_f16_sdwa v62, v86 dst_sel:DWORD dst_unused:UNUSED_PAD src0_sel:WORD_1
	s_waitcnt vmcnt(3)
	v_cndmask_b32_e64 v86, 0, v112, s2
	s_and_b32 s0, s0, s1
	v_max_f32_e32 v87, 0, v7
	v_add_f32_e32 v57, v74, v88
	v_add_f32_e32 v7, v71, v62
	v_cvt_f32_f16_e32 v62, v86
	v_cvt_f32_f16_sdwa v71, v86 dst_sel:DWORD dst_unused:UNUSED_PAD src0_sel:WORD_1
	v_or_b32_e32 v86, 0x43, v83
	s_waitcnt vmcnt(2)
	v_cndmask_b32_e64 v88, 0, v115, s0
	v_cndmask_b32_e64 v90, 0, v114, s0
	v_max_f32_e32 v91, 0, v7
	v_add_f32_e32 v7, v50, v62
	v_cmp_gt_i32_e64 s0, s33, v86
	v_add_f32_e32 v50, v51, v71
	v_cvt_f32_f16_e32 v51, v90
	v_cvt_f32_f16_sdwa v62, v90 dst_sel:DWORD dst_unused:UNUSED_PAD src0_sel:WORD_1
	v_max_f32_e32 v92, 0, v7
	s_and_b32 vcc_lo, s0, vcc_lo
	v_cvt_f16_f32_e32 v9, v9
	v_add_f32_e32 v7, v66, v51
	v_add_f32_e32 v51, v68, v62
	v_cvt_f16_f32_e32 v13, v13
	v_cndmask_b32_e64 v74, 0, v113, s2
	s_waitcnt vmcnt(0)
	v_cndmask_b32_e32 v90, 0, v116, vcc_lo
	v_cndmask_b32_e32 v71, 0, v117, vcc_lo
	s_and_b32 vcc_lo, s0, s1
	v_max_f32_e32 v93, 0, v7
	v_cndmask_b32_e32 v68, 0, v118, vcc_lo
	v_cvt_f32_f16_e32 v62, v90
	v_cvt_f32_f16_sdwa v90, v90 dst_sel:DWORD dst_unused:UNUSED_PAD src0_sel:WORD_1
	v_cndmask_b32_e32 v66, 0, v119, vcc_lo
	v_cmp_gt_i32_e32 vcc_lo, s36, v82
	v_cmp_gt_i32_e64 s1, s24, v83
	v_add_f32_e32 v7, v48, v62
	v_cvt_f32_f16_e32 v48, v68
	v_cvt_f32_f16_sdwa v62, v8 dst_sel:DWORD dst_unused:UNUSED_PAD src0_sel:WORD_1
	v_cvt_f32_f16_e32 v8, v8
	v_add_f32_e32 v49, v49, v90
	v_max_f32_e32 v90, 0, v7
	v_add_f32_e32 v7, v58, v48
	v_add_f32_e32 v47, v47, v62
	;; [unrolled: 1-line block ×3, first 2 shown]
	v_max_f32_e32 v48, 0, v49
	v_cvt_f32_f16_sdwa v46, v68 dst_sel:DWORD dst_unused:UNUSED_PAD src0_sel:WORD_1
	v_max_f32_e32 v49, 0, v7
	v_mul_lo_u32 v7, v83, s34
	v_max_f32_e32 v8, 0, v8
	v_max_f32_e32 v47, 0, v47
	v_add_f32_e32 v46, v54, v46
	s_and_b32 s0, s1, vcc_lo
	s_lshl_b32 s2, s35, 6
	v_cvt_f16_f32_e32 v54, v8
	v_cvt_f16_f32_e32 v47, v47
	v_mad_u64_u32 v[7:8], null, v82, s35, v[7:8]
	v_pack_b32_f16 v8, v9, v13
	v_cvt_f32_f16_sdwa v13, v11 dst_sel:DWORD dst_unused:UNUSED_PAD src0_sel:WORD_1
	v_cvt_f32_f16_e32 v11, v11
	v_pack_b32_f16 v9, v54, v47
	v_cvt_f16_f32_e32 v47, v63
	s_lshl_b32 s14, s37, 1
	v_add_f32_e32 v13, v45, v13
	v_add_f32_e32 v11, v44, v11
	v_cndmask_b32_e64 v44, 0x80000000, 0, s0
	v_cmp_gt_i32_e64 s0, s36, v10
	v_cvt_f16_f32_e32 v10, v69
	v_max_f32_e32 v13, 0, v13
	v_max_f32_e32 v11, 0, v11
	v_add_nc_u32_e32 v45, s2, v7
	s_and_b32 s1, s1, s0
	v_lshl_add_u32 v44, v7, 1, v44
	v_cvt_f16_f32_e32 v13, v13
	v_cvt_f16_f32_e32 v11, v11
	v_cndmask_b32_e64 v54, 0x80000000, 0, s1
	v_pack_b32_f16 v10, v10, v47
	v_cvt_f32_f16_sdwa v47, v15 dst_sel:DWORD dst_unused:UNUSED_PAD src0_sel:WORD_1
	v_cvt_f32_f16_e32 v15, v15
	v_pack_b32_f16 v11, v11, v13
	v_lshl_add_u32 v13, v45, 1, v54
	buffer_store_dwordx2 v[8:9], v44, s[12:15], 0 offen
	buffer_store_dwordx2 v[10:11], v13, s[12:15], 0 offen
	v_add_f32_e32 v43, v43, v47
	v_add_f32_e32 v8, v42, v15
	v_cmp_gt_i32_e64 s1, s24, v12
	v_cvt_f32_f16_sdwa v12, v14 dst_sel:DWORD dst_unused:UNUSED_PAD src0_sel:WORD_1
	v_cvt_f32_f16_e32 v13, v14
	v_max_f32_e32 v9, 0, v43
	v_max_f32_e32 v8, 0, v8
	s_and_b32 s3, s1, s0
	v_add_nc_u32_e32 v15, s34, v45
	v_cvt_f16_f32_e32 v10, v77
	v_cvt_f16_f32_e32 v11, v73
	;; [unrolled: 1-line block ×4, first 2 shown]
	v_cndmask_b32_e64 v42, 0x80000000, 0, s3
	v_add_f32_e32 v12, v41, v12
	v_add_f32_e32 v13, v40, v13
	v_pack_b32_f16 v8, v10, v11
	v_pack_b32_f16 v9, v14, v9
	v_lshl_add_u32 v14, v15, 1, v42
	v_max_f32_e32 v10, 0, v12
	v_max_f32_e32 v11, 0, v13
	v_cvt_f16_f32_e32 v12, v64
	v_cvt_f16_f32_e32 v13, v76
	v_cvt_f32_f16_sdwa v41, v79 dst_sel:DWORD dst_unused:UNUSED_PAD src0_sel:WORD_1
	v_cvt_f32_f16_e32 v42, v79
	v_cvt_f16_f32_e32 v40, v10
	s_and_b32 s1, s1, vcc_lo
	v_pack_b32_f16 v10, v12, v13
	v_add_f32_e32 v12, v38, v41
	v_add_f32_e32 v13, v37, v42
	v_cndmask_b32_e64 v43, 0x80000000, 0, s1
	v_cmp_gt_i32_e64 s1, s24, v70
	v_add_nc_u32_e32 v7, s34, v7
	v_cvt_f16_f32_e32 v11, v11
	v_max_f32_e32 v12, 0, v12
	v_max_f32_e32 v13, 0, v13
	s_and_b32 s3, s1, vcc_lo
	v_lshl_add_u32 v37, v7, 1, v43
	v_pack_b32_f16 v11, v11, v40
	v_cvt_f16_f32_e32 v38, v59
	v_cvt_f16_f32_e32 v40, v72
	v_cvt_f32_f16_sdwa v43, v80 dst_sel:DWORD dst_unused:UNUSED_PAD src0_sel:WORD_1
	v_add_nc_u32_e32 v7, s34, v7
	v_cvt_f16_f32_e32 v41, v12
	v_cvt_f16_f32_e32 v13, v13
	v_cndmask_b32_e64 v42, 0x80000000, 0, s3
	v_pack_b32_f16 v12, v38, v40
	v_cvt_f32_f16_e32 v38, v80
	v_add_f32_e32 v39, v39, v43
	v_pack_b32_f16 v13, v13, v41
	v_lshl_add_u32 v7, v7, 1, v42
	buffer_store_dwordx2 v[8:9], v14, s[12:15], 0 offen
	v_add_f32_e32 v8, v36, v38
	buffer_store_dwordx2 v[10:11], v37, s[12:15], 0 offen
	buffer_store_dwordx2 v[12:13], v7, s[12:15], 0 offen
	v_max_f32_e32 v7, 0, v39
	v_cvt_f16_f32_e32 v9, v84
	v_max_f32_e32 v8, 0, v8
	v_cvt_f16_f32_e32 v10, v52
	v_cvt_f32_f16_e32 v12, v85
	v_cvt_f16_f32_e32 v11, v7
	v_cvt_f32_f16_sdwa v7, v85 dst_sel:DWORD dst_unused:UNUSED_PAD src0_sel:WORD_1
	v_max_f32_e32 v60, 0, v60
	v_add_nc_u32_e32 v13, s34, v15
	v_cvt_f16_f32_e32 v8, v8
	s_and_b32 s1, s1, s0
	v_add_f32_e32 v15, v35, v7
	v_pack_b32_f16 v7, v9, v10
	v_add_f32_e32 v9, v34, v12
	v_pack_b32_f16 v8, v8, v11
	v_cvt_f16_f32_e32 v11, v65
	v_cvt_f16_f32_e32 v12, v60
	v_cvt_f32_f16_sdwa v34, v56 dst_sel:DWORD dst_unused:UNUSED_PAD src0_sel:WORD_1
	v_max_f32_e32 v9, 0, v9
	v_cvt_f32_f16_e32 v35, v56
	v_cndmask_b32_e64 v14, 0x80000000, 0, s1
	v_max_f32_e32 v10, 0, v15
	v_cmp_gt_i32_e64 s1, s24, v81
	v_cvt_f16_f32_e32 v36, v9
	v_pack_b32_f16 v9, v11, v12
	v_add_f32_e32 v11, v28, v34
	v_add_f32_e32 v12, v27, v35
	v_lshl_add_u32 v14, v13, 1, v14
	v_add_nc_u32_e32 v15, s34, v13
	v_cvt_f16_f32_e32 v10, v10
	v_max_f32_e32 v11, 0, v11
	v_max_f32_e32 v12, 0, v12
	v_cvt_f16_f32_e32 v34, v53
	v_cvt_f16_f32_e32 v35, v67
	s_and_b32 s3, s1, s0
	s_and_b32 s1, s1, vcc_lo
	v_pack_b32_f16 v10, v36, v10
	v_cndmask_b32_e64 v27, 0x80000000, 0, s3
	v_subrev_nc_u32_e32 v28, s2, v15
	v_cvt_f16_f32_e32 v36, v11
	v_cvt_f16_f32_e32 v12, v12
	v_cndmask_b32_e64 v37, 0x80000000, 0, s1
	v_pack_b32_f16 v11, v34, v35
	v_cvt_f32_f16_sdwa v34, v71 dst_sel:DWORD dst_unused:UNUSED_PAD src0_sel:WORD_1
	buffer_store_dwordx2 v[7:8], v14, s[12:15], 0 offen
	v_cvt_f32_f16_e32 v7, v71
	v_lshl_add_u32 v27, v15, 1, v27
	v_pack_b32_f16 v12, v12, v36
	v_lshl_add_u32 v35, v28, 1, v37
	v_add_f32_e32 v8, v32, v34
	v_add_f32_e32 v7, v31, v7
	v_cmp_gt_i32_e64 s1, s24, v86
	buffer_store_dwordx2 v[9:10], v27, s[12:15], 0 offen
	buffer_store_dwordx2 v[11:12], v35, s[12:15], 0 offen
	v_max_f32_e32 v8, 0, v8
	v_max_f32_e32 v7, 0, v7
	v_cvt_f32_f16_sdwa v12, v66 dst_sel:DWORD dst_unused:UNUSED_PAD src0_sel:WORD_1
	v_cvt_f32_f16_e32 v14, v66
	s_lshl_b32 s3, s34, 6
	s_and_b32 s4, s1, vcc_lo
	v_max_f32_e32 v46, 0, v46
	v_add_nc_u32_e32 v9, s3, v28
	v_cvt_f16_f32_e32 v10, v90
	v_cvt_f16_f32_e32 v11, v48
	;; [unrolled: 1-line block ×4, first 2 shown]
	v_cndmask_b32_e64 v28, 0x80000000, 0, s4
	v_add_f32_e32 v12, v24, v12
	v_add_f32_e32 v14, v33, v14
	v_pack_b32_f16 v7, v10, v11
	v_pack_b32_f16 v8, v27, v8
	v_lshl_add_u32 v24, v9, 1, v28
	v_max_f32_e32 v9, 0, v12
	v_max_f32_e32 v10, 0, v14
	v_cvt_f16_f32_e32 v12, v49
	v_cvt_f16_f32_e32 v14, v46
	v_cvt_f32_f16_sdwa v27, v88 dst_sel:DWORD dst_unused:UNUSED_PAD src0_sel:WORD_1
	v_cvt_f32_f16_e32 v28, v88
	s_and_b32 s1, s1, s0
	v_max_f32_e32 v51, 0, v51
	v_add_nc_u32_e32 v11, s3, v15
	v_cvt_f16_f32_e32 v15, v9
	v_cvt_f16_f32_e32 v10, v10
	v_cndmask_b32_e64 v31, 0x80000000, 0, s1
	v_pack_b32_f16 v9, v12, v14
	v_add_f32_e32 v12, v30, v27
	v_add_f32_e32 v14, v29, v28
	v_cmp_ge_i32_e64 s1, s24, v86
	v_pack_b32_f16 v10, v10, v15
	v_lshl_add_u32 v15, v11, 1, v31
	v_max_f32_e32 v11, 0, v12
	v_max_f32_e32 v12, 0, v14
	v_cvt_f16_f32_e32 v14, v93
	v_cvt_f16_f32_e32 v27, v51
	s_and_b32 s1, s1, s0
	v_cvt_f16_f32_e32 v28, v11
	v_add_nc_u32_e32 v13, s3, v13
	v_cvt_f16_f32_e32 v12, v12
	v_pack_b32_f16 v11, v14, v27
	v_cvt_f32_f16_sdwa v14, v74 dst_sel:DWORD dst_unused:UNUSED_PAD src0_sel:WORD_1
	v_cndmask_b32_e64 v29, 0x80000000, 0, s1
	v_max_f32_e32 v50, 0, v50
	buffer_store_dwordx2 v[7:8], v24, s[12:15], 0 offen
	v_pack_b32_f16 v12, v12, v28
	v_add_f32_e32 v7, v26, v14
	v_lshl_add_u32 v28, v13, 1, v29
	v_cmp_gt_i32_e64 s1, s24, v75
	buffer_store_dwordx2 v[9:10], v15, s[12:15], 0 offen
	buffer_store_dwordx2 v[11:12], v28, s[12:15], 0 offen
	v_subrev_nc_u32_e32 v9, s2, v13
	v_max_f32_e32 v7, 0, v7
	v_cvt_f16_f32_e32 v10, v92
	v_cvt_f16_f32_e32 v11, v50
	v_cvt_f32_f16_e32 v13, v61
	v_cvt_f32_f16_sdwa v14, v61 dst_sel:DWORD dst_unused:UNUSED_PAD src0_sel:WORD_1
	s_and_b32 s1, s1, vcc_lo
	v_cvt_f32_f16_e32 v27, v74
	v_cvt_f16_f32_e32 v12, v7
	v_cndmask_b32_e64 v15, 0x80000000, 0, s1
	v_pack_b32_f16 v7, v10, v11
	v_add_f32_e32 v10, v21, v14
	v_add_f32_e32 v11, v20, v13
	v_add_f32_e32 v8, v25, v27
	v_lshl_add_u32 v13, v9, 1, v15
	v_cvt_f32_f16_e32 v14, v78
	v_max_f32_e32 v10, 0, v10
	v_max_f32_e32 v11, 0, v11
	v_cvt_f32_f16_sdwa v15, v78 dst_sel:DWORD dst_unused:UNUSED_PAD src0_sel:WORD_1
	v_max_f32_e32 v8, 0, v8
	v_add_f32_e32 v14, v22, v14
	v_cvt_f16_f32_e32 v10, v10
	v_cvt_f16_f32_e32 v11, v11
	v_add_f32_e32 v15, v23, v15
	v_cmp_ge_i32_e64 s1, s24, v75
	v_max_f32_e32 v55, 0, v55
	v_cvt_f16_f32_e32 v8, v8
	v_pack_b32_f16 v10, v11, v10
	v_max_f32_e32 v11, 0, v14
	v_max_f32_e32 v14, 0, v15
	s_and_b32 s1, s1, vcc_lo
	v_max_f32_e32 v57, 0, v57
	v_pack_b32_f16 v8, v8, v12
	v_subrev_nc_u32_e32 v12, s34, v9
	v_cvt_f16_f32_e32 v9, v87
	v_cvt_f16_f32_e32 v20, v55
	v_cndmask_b32_e64 v15, 0x80000000, 0, s1
	v_cvt_f16_f32_e32 v14, v14
	v_cvt_f16_f32_e32 v22, v11
	v_max_f32_e32 v6, 0, v6
	v_pack_b32_f16 v9, v9, v20
	v_cvt_f16_f32_e32 v20, v57
	v_cvt_f16_f32_e32 v21, v91
	v_lshl_add_u32 v15, v12, 1, v15
	v_add_nc_u32_e32 v23, s2, v12
	v_pack_b32_f16 v12, v22, v14
	v_cvt_f32_f16_e32 v14, v5
	v_cvt_f32_f16_sdwa v5, v5 dst_sel:DWORD dst_unused:UNUSED_PAD src0_sel:WORD_1
	v_cmp_gt_i32_e64 s1, s24, v4
	v_pack_b32_f16 v11, v20, v21
	v_cvt_f16_f32_e32 v6, v6
	v_cvt_f16_f32_e32 v21, v89
	v_add_f32_e32 v19, v19, v5
	v_add_f32_e32 v14, v18, v14
	s_and_b32 s1, s1, s0
	v_max_f32_e32 v1, 0, v1
	v_pack_b32_f16 v5, v6, v21
	v_max_f32_e32 v6, 0, v19
	v_max_f32_e32 v14, 0, v14
	v_cvt_f32_f16_sdwa v19, v3 dst_sel:DWORD dst_unused:UNUSED_PAD src0_sel:WORD_1
	v_cvt_f32_f16_e32 v3, v3
	v_cndmask_b32_e64 v20, 0x80000000, 0, s1
	v_cmp_ge_i32_e64 s1, s24, v4
	v_cvt_f16_f32_e32 v4, v6
	v_cvt_f16_f32_e32 v6, v14
	v_add_f32_e32 v14, v17, v19
	v_add_f32_e32 v3, v16, v3
	s_and_b32 s0, s1, s0
	v_max_f32_e32 v2, 0, v2
	v_cndmask_b32_e64 v16, 0x80000000, 0, s0
	v_cmp_gt_i32_e64 s0, s24, v0
	v_lshl_add_u32 v18, v23, 1, v20
	v_subrev_nc_u32_e32 v20, s34, v23
	v_max_f32_e32 v14, 0, v14
	v_max_f32_e32 v3, 0, v3
	s_and_b32 s0, s0, vcc_lo
	v_cvt_f16_f32_e32 v0, v1
	v_subrev_nc_u32_e32 v17, s2, v20
	v_cvt_f16_f32_e32 v1, v2
	v_cvt_f16_f32_e32 v2, v14
	;; [unrolled: 1-line block ×3, first 2 shown]
	v_cndmask_b32_e64 v14, 0x80000000, 0, s0
	v_pack_b32_f16 v6, v6, v4
	v_lshl_add_u32 v4, v20, 1, v16
	v_pack_b32_f16 v0, v0, v1
	v_pack_b32_f16 v1, v3, v2
	v_lshl_add_u32 v2, v17, 1, v14
	buffer_store_dwordx2 v[7:8], v13, s[12:15], 0 offen
	buffer_store_dwordx2 v[9:10], v15, s[12:15], 0 offen
	buffer_store_dwordx2 v[11:12], v18, s[12:15], 0 offen
	buffer_store_dwordx2 v[5:6], v4, s[12:15], 0 offen
	buffer_store_dwordx2 v[0:1], v2, s[12:15], 0 offen
	s_endpgm
	.section	.rodata,"a",@progbits
	.p2align	6, 0x0
	.amdhsa_kernel _ZN2ck16tensor_operation6device12_GLOBAL__N_137kernel_grouped_conv_fwd_dl_multiple_dINS_32GridwiseGemmDlMultipleD_km_kn_mnILi256EDF16_fNS_5TupleIJDF16_EEEDF16_NS0_12element_wise11PassThroughES8_NS7_7AddReluELNS_25InMemoryDataOperationEnumE0ENS_16TensorDescriptorINS5_IJNS_5EmbedINS5_IJiiiiEEESD_Lb0EEENS_11PassThroughIiEENS_3PadIiiiLb0EEESI_SG_SG_NSC_INS5_IJiiEEESJ_Lb0EEESK_SG_NS_23Merge_v2_magic_divisionINS5_IJiiiEEEEESN_NS_8RightPadIiiLb0EEESP_NS_7UnMergeISJ_Lb0EEESG_EEENS5_IJNS_8SequenceIJLi0EEEENST_IJLi1EEEENST_IJLi2EEEENST_IJLi3EEEENST_IJLi4EEEENST_IJLi5EEEENST_IJLi6EEEENST_IJLi7EEEENST_IJLi8EEEENST_IJLi9ELi11ELi13EEEENST_IJLi10ELi12ELi14EEEENST_IJLi15EEEENST_IJLi16EEEENST_IJLi18EEEENST_IJLi17EEEEEEENS5_IJNST_IJLi1ELi2ELi3ELi4EEEESZ_S10_S11_S12_NST_IJLi9EEEENST_IJLi10ELi11EEEENST_IJLi12ELi13EEEENST_IJLi14EEEES15_S16_S18_S17_NST_IJLi19ELi20EEEENST_IJLi21EEEEEEENST_IJLi19ELi21ELi20EEEElEENSB_INS5_IJSR_SP_SP_SR_SG_EEENS5_IJSU_SV_SW_SY_SX_EEENS5_IJNST_IJLi1ELi2EEEESX_SY_NST_IJLi5ELi6EEEES11_EEENST_IJLi5ELi7ELi6EEEElEENSB_INS5_IJSK_SP_SP_EEENS5_IJSU_SV_SW_EEENS5_IJS1M_SX_SY_EEENST_IJLi3ELi4EEEElEELi128ELi128ELi16ELi2ELi4ELi4ELi1ENST_IJLi8ELi2EEEES1W_NST_IJLi8ELi1ELi1ELi2EEEENST_IJLi2ELi1ELi128ELi1EEEENST_IJLi1ELi2ELi0ELi3EEEES1Z_NST_IJLi4ELi1ELi1ELi2EEEES1Z_NST_IJLi1ELi1ELi1ELi2EEEES1X_S1Y_S1Z_S1Z_S20_S1Z_S21_NST_IJLi0ELi1ELi2ELi3ELi4ELi5EEEELi5ELi4EEEDF16_NS5_IJPKDF16_EEEDF16_S8_S8_S9_NSB_INS5_IJSE_SG_SI_SI_SG_SG_SK_SK_SG_SN_SN_SP_SP_SR_SG_SG_NSQ_INS5_IJiNS_17integral_constantIiLi128EEEEEELb0EEENSF_INS27_IiLi2EEEEEEEENS5_IJSU_SV_SW_SX_SY_SZ_S10_S11_S12_S13_S14_S15_S16_S17_S18_NST_IJLi19EEEES1G_NST_IJLi20EEEEEEENS5_IJS1A_SZ_S10_S11_S12_S1B_S1C_S1D_S1E_S15_S16_S18_S17_S1F_S1G_NST_IJLi22EEEENST_IJLi23ELi24EEEENST_IJLi25EEEEEEENST_IJLi22ELi23ELi24ELi25EEEElEENSB_INS5_IJSR_SP_SP_SR_SG_SG_S2A_S2C_EEENS5_IJSU_SV_SW_SY_SX_SZ_S11_S10_EEENS5_IJS1M_SX_SY_S1N_S11_S12_NST_IJLi9ELi10EEEENST_IJLi11EEEEEEENST_IJLi8ELi9ELi10ELi11EEEElEENS5_IJNSB_INS5_IJSK_SP_SP_NSQ_INS5_IJiS2B_NS27_IiLi64EEEEEELb0EEES2W_EEENS5_IJSU_SV_SW_SX_SY_EEENS5_IJS1M_SX_SY_NST_IJLi5ELi6ELi7EEEENST_IJLi8ELi9ELi10EEEEEEENST_IJLi5ELi6ELi7ELi8ELi9ELi10EEEElEEEEES33_NS_31BlockToCTileMap_M00_N00_M01_N01ILi128ELi128ES1V_Lb0EEENS1_30ComputePtrOffsetOfStridedBatchILi1ELi1ELi1EvEELb0ELb1EEEvPKT0_S3B_T1_PT2_T3_T4_T5_iT6_T7_T8_T9_T10_T11_
		.amdhsa_group_segment_fixed_size 32768
		.amdhsa_private_segment_fixed_size 0
		.amdhsa_kernarg_size 968
		.amdhsa_user_sgpr_count 6
		.amdhsa_user_sgpr_private_segment_buffer 1
		.amdhsa_user_sgpr_dispatch_ptr 0
		.amdhsa_user_sgpr_queue_ptr 0
		.amdhsa_user_sgpr_kernarg_segment_ptr 1
		.amdhsa_user_sgpr_dispatch_id 0
		.amdhsa_user_sgpr_flat_scratch_init 0
		.amdhsa_user_sgpr_private_segment_size 0
		.amdhsa_wavefront_size32 1
		.amdhsa_uses_dynamic_stack 0
		.amdhsa_system_sgpr_private_segment_wavefront_offset 0
		.amdhsa_system_sgpr_workgroup_id_x 1
		.amdhsa_system_sgpr_workgroup_id_y 0
		.amdhsa_system_sgpr_workgroup_id_z 0
		.amdhsa_system_sgpr_workgroup_info 0
		.amdhsa_system_vgpr_workitem_id 0
		.amdhsa_next_free_vgpr 121
		.amdhsa_next_free_sgpr 62
		.amdhsa_reserve_vcc 1
		.amdhsa_reserve_flat_scratch 0
		.amdhsa_float_round_mode_32 0
		.amdhsa_float_round_mode_16_64 0
		.amdhsa_float_denorm_mode_32 3
		.amdhsa_float_denorm_mode_16_64 3
		.amdhsa_dx10_clamp 1
		.amdhsa_ieee_mode 1
		.amdhsa_fp16_overflow 0
		.amdhsa_workgroup_processor_mode 1
		.amdhsa_memory_ordered 1
		.amdhsa_forward_progress 1
		.amdhsa_shared_vgpr_count 0
		.amdhsa_exception_fp_ieee_invalid_op 0
		.amdhsa_exception_fp_denorm_src 0
		.amdhsa_exception_fp_ieee_div_zero 0
		.amdhsa_exception_fp_ieee_overflow 0
		.amdhsa_exception_fp_ieee_underflow 0
		.amdhsa_exception_fp_ieee_inexact 0
		.amdhsa_exception_int_div_zero 0
	.end_amdhsa_kernel
	.section	.text._ZN2ck16tensor_operation6device12_GLOBAL__N_137kernel_grouped_conv_fwd_dl_multiple_dINS_32GridwiseGemmDlMultipleD_km_kn_mnILi256EDF16_fNS_5TupleIJDF16_EEEDF16_NS0_12element_wise11PassThroughES8_NS7_7AddReluELNS_25InMemoryDataOperationEnumE0ENS_16TensorDescriptorINS5_IJNS_5EmbedINS5_IJiiiiEEESD_Lb0EEENS_11PassThroughIiEENS_3PadIiiiLb0EEESI_SG_SG_NSC_INS5_IJiiEEESJ_Lb0EEESK_SG_NS_23Merge_v2_magic_divisionINS5_IJiiiEEEEESN_NS_8RightPadIiiLb0EEESP_NS_7UnMergeISJ_Lb0EEESG_EEENS5_IJNS_8SequenceIJLi0EEEENST_IJLi1EEEENST_IJLi2EEEENST_IJLi3EEEENST_IJLi4EEEENST_IJLi5EEEENST_IJLi6EEEENST_IJLi7EEEENST_IJLi8EEEENST_IJLi9ELi11ELi13EEEENST_IJLi10ELi12ELi14EEEENST_IJLi15EEEENST_IJLi16EEEENST_IJLi18EEEENST_IJLi17EEEEEEENS5_IJNST_IJLi1ELi2ELi3ELi4EEEESZ_S10_S11_S12_NST_IJLi9EEEENST_IJLi10ELi11EEEENST_IJLi12ELi13EEEENST_IJLi14EEEES15_S16_S18_S17_NST_IJLi19ELi20EEEENST_IJLi21EEEEEEENST_IJLi19ELi21ELi20EEEElEENSB_INS5_IJSR_SP_SP_SR_SG_EEENS5_IJSU_SV_SW_SY_SX_EEENS5_IJNST_IJLi1ELi2EEEESX_SY_NST_IJLi5ELi6EEEES11_EEENST_IJLi5ELi7ELi6EEEElEENSB_INS5_IJSK_SP_SP_EEENS5_IJSU_SV_SW_EEENS5_IJS1M_SX_SY_EEENST_IJLi3ELi4EEEElEELi128ELi128ELi16ELi2ELi4ELi4ELi1ENST_IJLi8ELi2EEEES1W_NST_IJLi8ELi1ELi1ELi2EEEENST_IJLi2ELi1ELi128ELi1EEEENST_IJLi1ELi2ELi0ELi3EEEES1Z_NST_IJLi4ELi1ELi1ELi2EEEES1Z_NST_IJLi1ELi1ELi1ELi2EEEES1X_S1Y_S1Z_S1Z_S20_S1Z_S21_NST_IJLi0ELi1ELi2ELi3ELi4ELi5EEEELi5ELi4EEEDF16_NS5_IJPKDF16_EEEDF16_S8_S8_S9_NSB_INS5_IJSE_SG_SI_SI_SG_SG_SK_SK_SG_SN_SN_SP_SP_SR_SG_SG_NSQ_INS5_IJiNS_17integral_constantIiLi128EEEEEELb0EEENSF_INS27_IiLi2EEEEEEEENS5_IJSU_SV_SW_SX_SY_SZ_S10_S11_S12_S13_S14_S15_S16_S17_S18_NST_IJLi19EEEES1G_NST_IJLi20EEEEEEENS5_IJS1A_SZ_S10_S11_S12_S1B_S1C_S1D_S1E_S15_S16_S18_S17_S1F_S1G_NST_IJLi22EEEENST_IJLi23ELi24EEEENST_IJLi25EEEEEEENST_IJLi22ELi23ELi24ELi25EEEElEENSB_INS5_IJSR_SP_SP_SR_SG_SG_S2A_S2C_EEENS5_IJSU_SV_SW_SY_SX_SZ_S11_S10_EEENS5_IJS1M_SX_SY_S1N_S11_S12_NST_IJLi9ELi10EEEENST_IJLi11EEEEEEENST_IJLi8ELi9ELi10ELi11EEEElEENS5_IJNSB_INS5_IJSK_SP_SP_NSQ_INS5_IJiS2B_NS27_IiLi64EEEEEELb0EEES2W_EEENS5_IJSU_SV_SW_SX_SY_EEENS5_IJS1M_SX_SY_NST_IJLi5ELi6ELi7EEEENST_IJLi8ELi9ELi10EEEEEEENST_IJLi5ELi6ELi7ELi8ELi9ELi10EEEElEEEEES33_NS_31BlockToCTileMap_M00_N00_M01_N01ILi128ELi128ES1V_Lb0EEENS1_30ComputePtrOffsetOfStridedBatchILi1ELi1ELi1EvEELb0ELb1EEEvPKT0_S3B_T1_PT2_T3_T4_T5_iT6_T7_T8_T9_T10_T11_,"axG",@progbits,_ZN2ck16tensor_operation6device12_GLOBAL__N_137kernel_grouped_conv_fwd_dl_multiple_dINS_32GridwiseGemmDlMultipleD_km_kn_mnILi256EDF16_fNS_5TupleIJDF16_EEEDF16_NS0_12element_wise11PassThroughES8_NS7_7AddReluELNS_25InMemoryDataOperationEnumE0ENS_16TensorDescriptorINS5_IJNS_5EmbedINS5_IJiiiiEEESD_Lb0EEENS_11PassThroughIiEENS_3PadIiiiLb0EEESI_SG_SG_NSC_INS5_IJiiEEESJ_Lb0EEESK_SG_NS_23Merge_v2_magic_divisionINS5_IJiiiEEEEESN_NS_8RightPadIiiLb0EEESP_NS_7UnMergeISJ_Lb0EEESG_EEENS5_IJNS_8SequenceIJLi0EEEENST_IJLi1EEEENST_IJLi2EEEENST_IJLi3EEEENST_IJLi4EEEENST_IJLi5EEEENST_IJLi6EEEENST_IJLi7EEEENST_IJLi8EEEENST_IJLi9ELi11ELi13EEEENST_IJLi10ELi12ELi14EEEENST_IJLi15EEEENST_IJLi16EEEENST_IJLi18EEEENST_IJLi17EEEEEEENS5_IJNST_IJLi1ELi2ELi3ELi4EEEESZ_S10_S11_S12_NST_IJLi9EEEENST_IJLi10ELi11EEEENST_IJLi12ELi13EEEENST_IJLi14EEEES15_S16_S18_S17_NST_IJLi19ELi20EEEENST_IJLi21EEEEEEENST_IJLi19ELi21ELi20EEEElEENSB_INS5_IJSR_SP_SP_SR_SG_EEENS5_IJSU_SV_SW_SY_SX_EEENS5_IJNST_IJLi1ELi2EEEESX_SY_NST_IJLi5ELi6EEEES11_EEENST_IJLi5ELi7ELi6EEEElEENSB_INS5_IJSK_SP_SP_EEENS5_IJSU_SV_SW_EEENS5_IJS1M_SX_SY_EEENST_IJLi3ELi4EEEElEELi128ELi128ELi16ELi2ELi4ELi4ELi1ENST_IJLi8ELi2EEEES1W_NST_IJLi8ELi1ELi1ELi2EEEENST_IJLi2ELi1ELi128ELi1EEEENST_IJLi1ELi2ELi0ELi3EEEES1Z_NST_IJLi4ELi1ELi1ELi2EEEES1Z_NST_IJLi1ELi1ELi1ELi2EEEES1X_S1Y_S1Z_S1Z_S20_S1Z_S21_NST_IJLi0ELi1ELi2ELi3ELi4ELi5EEEELi5ELi4EEEDF16_NS5_IJPKDF16_EEEDF16_S8_S8_S9_NSB_INS5_IJSE_SG_SI_SI_SG_SG_SK_SK_SG_SN_SN_SP_SP_SR_SG_SG_NSQ_INS5_IJiNS_17integral_constantIiLi128EEEEEELb0EEENSF_INS27_IiLi2EEEEEEEENS5_IJSU_SV_SW_SX_SY_SZ_S10_S11_S12_S13_S14_S15_S16_S17_S18_NST_IJLi19EEEES1G_NST_IJLi20EEEEEEENS5_IJS1A_SZ_S10_S11_S12_S1B_S1C_S1D_S1E_S15_S16_S18_S17_S1F_S1G_NST_IJLi22EEEENST_IJLi23ELi24EEEENST_IJLi25EEEEEEENST_IJLi22ELi23ELi24ELi25EEEElEENSB_INS5_IJSR_SP_SP_SR_SG_SG_S2A_S2C_EEENS5_IJSU_SV_SW_SY_SX_SZ_S11_S10_EEENS5_IJS1M_SX_SY_S1N_S11_S12_NST_IJLi9ELi10EEEENST_IJLi11EEEEEEENST_IJLi8ELi9ELi10ELi11EEEElEENS5_IJNSB_INS5_IJSK_SP_SP_NSQ_INS5_IJiS2B_NS27_IiLi64EEEEEELb0EEES2W_EEENS5_IJSU_SV_SW_SX_SY_EEENS5_IJS1M_SX_SY_NST_IJLi5ELi6ELi7EEEENST_IJLi8ELi9ELi10EEEEEEENST_IJLi5ELi6ELi7ELi8ELi9ELi10EEEElEEEEES33_NS_31BlockToCTileMap_M00_N00_M01_N01ILi128ELi128ES1V_Lb0EEENS1_30ComputePtrOffsetOfStridedBatchILi1ELi1ELi1EvEELb0ELb1EEEvPKT0_S3B_T1_PT2_T3_T4_T5_iT6_T7_T8_T9_T10_T11_,comdat
.Lfunc_end7:
	.size	_ZN2ck16tensor_operation6device12_GLOBAL__N_137kernel_grouped_conv_fwd_dl_multiple_dINS_32GridwiseGemmDlMultipleD_km_kn_mnILi256EDF16_fNS_5TupleIJDF16_EEEDF16_NS0_12element_wise11PassThroughES8_NS7_7AddReluELNS_25InMemoryDataOperationEnumE0ENS_16TensorDescriptorINS5_IJNS_5EmbedINS5_IJiiiiEEESD_Lb0EEENS_11PassThroughIiEENS_3PadIiiiLb0EEESI_SG_SG_NSC_INS5_IJiiEEESJ_Lb0EEESK_SG_NS_23Merge_v2_magic_divisionINS5_IJiiiEEEEESN_NS_8RightPadIiiLb0EEESP_NS_7UnMergeISJ_Lb0EEESG_EEENS5_IJNS_8SequenceIJLi0EEEENST_IJLi1EEEENST_IJLi2EEEENST_IJLi3EEEENST_IJLi4EEEENST_IJLi5EEEENST_IJLi6EEEENST_IJLi7EEEENST_IJLi8EEEENST_IJLi9ELi11ELi13EEEENST_IJLi10ELi12ELi14EEEENST_IJLi15EEEENST_IJLi16EEEENST_IJLi18EEEENST_IJLi17EEEEEEENS5_IJNST_IJLi1ELi2ELi3ELi4EEEESZ_S10_S11_S12_NST_IJLi9EEEENST_IJLi10ELi11EEEENST_IJLi12ELi13EEEENST_IJLi14EEEES15_S16_S18_S17_NST_IJLi19ELi20EEEENST_IJLi21EEEEEEENST_IJLi19ELi21ELi20EEEElEENSB_INS5_IJSR_SP_SP_SR_SG_EEENS5_IJSU_SV_SW_SY_SX_EEENS5_IJNST_IJLi1ELi2EEEESX_SY_NST_IJLi5ELi6EEEES11_EEENST_IJLi5ELi7ELi6EEEElEENSB_INS5_IJSK_SP_SP_EEENS5_IJSU_SV_SW_EEENS5_IJS1M_SX_SY_EEENST_IJLi3ELi4EEEElEELi128ELi128ELi16ELi2ELi4ELi4ELi1ENST_IJLi8ELi2EEEES1W_NST_IJLi8ELi1ELi1ELi2EEEENST_IJLi2ELi1ELi128ELi1EEEENST_IJLi1ELi2ELi0ELi3EEEES1Z_NST_IJLi4ELi1ELi1ELi2EEEES1Z_NST_IJLi1ELi1ELi1ELi2EEEES1X_S1Y_S1Z_S1Z_S20_S1Z_S21_NST_IJLi0ELi1ELi2ELi3ELi4ELi5EEEELi5ELi4EEEDF16_NS5_IJPKDF16_EEEDF16_S8_S8_S9_NSB_INS5_IJSE_SG_SI_SI_SG_SG_SK_SK_SG_SN_SN_SP_SP_SR_SG_SG_NSQ_INS5_IJiNS_17integral_constantIiLi128EEEEEELb0EEENSF_INS27_IiLi2EEEEEEEENS5_IJSU_SV_SW_SX_SY_SZ_S10_S11_S12_S13_S14_S15_S16_S17_S18_NST_IJLi19EEEES1G_NST_IJLi20EEEEEEENS5_IJS1A_SZ_S10_S11_S12_S1B_S1C_S1D_S1E_S15_S16_S18_S17_S1F_S1G_NST_IJLi22EEEENST_IJLi23ELi24EEEENST_IJLi25EEEEEEENST_IJLi22ELi23ELi24ELi25EEEElEENSB_INS5_IJSR_SP_SP_SR_SG_SG_S2A_S2C_EEENS5_IJSU_SV_SW_SY_SX_SZ_S11_S10_EEENS5_IJS1M_SX_SY_S1N_S11_S12_NST_IJLi9ELi10EEEENST_IJLi11EEEEEEENST_IJLi8ELi9ELi10ELi11EEEElEENS5_IJNSB_INS5_IJSK_SP_SP_NSQ_INS5_IJiS2B_NS27_IiLi64EEEEEELb0EEES2W_EEENS5_IJSU_SV_SW_SX_SY_EEENS5_IJS1M_SX_SY_NST_IJLi5ELi6ELi7EEEENST_IJLi8ELi9ELi10EEEEEEENST_IJLi5ELi6ELi7ELi8ELi9ELi10EEEElEEEEES33_NS_31BlockToCTileMap_M00_N00_M01_N01ILi128ELi128ES1V_Lb0EEENS1_30ComputePtrOffsetOfStridedBatchILi1ELi1ELi1EvEELb0ELb1EEEvPKT0_S3B_T1_PT2_T3_T4_T5_iT6_T7_T8_T9_T10_T11_, .Lfunc_end7-_ZN2ck16tensor_operation6device12_GLOBAL__N_137kernel_grouped_conv_fwd_dl_multiple_dINS_32GridwiseGemmDlMultipleD_km_kn_mnILi256EDF16_fNS_5TupleIJDF16_EEEDF16_NS0_12element_wise11PassThroughES8_NS7_7AddReluELNS_25InMemoryDataOperationEnumE0ENS_16TensorDescriptorINS5_IJNS_5EmbedINS5_IJiiiiEEESD_Lb0EEENS_11PassThroughIiEENS_3PadIiiiLb0EEESI_SG_SG_NSC_INS5_IJiiEEESJ_Lb0EEESK_SG_NS_23Merge_v2_magic_divisionINS5_IJiiiEEEEESN_NS_8RightPadIiiLb0EEESP_NS_7UnMergeISJ_Lb0EEESG_EEENS5_IJNS_8SequenceIJLi0EEEENST_IJLi1EEEENST_IJLi2EEEENST_IJLi3EEEENST_IJLi4EEEENST_IJLi5EEEENST_IJLi6EEEENST_IJLi7EEEENST_IJLi8EEEENST_IJLi9ELi11ELi13EEEENST_IJLi10ELi12ELi14EEEENST_IJLi15EEEENST_IJLi16EEEENST_IJLi18EEEENST_IJLi17EEEEEEENS5_IJNST_IJLi1ELi2ELi3ELi4EEEESZ_S10_S11_S12_NST_IJLi9EEEENST_IJLi10ELi11EEEENST_IJLi12ELi13EEEENST_IJLi14EEEES15_S16_S18_S17_NST_IJLi19ELi20EEEENST_IJLi21EEEEEEENST_IJLi19ELi21ELi20EEEElEENSB_INS5_IJSR_SP_SP_SR_SG_EEENS5_IJSU_SV_SW_SY_SX_EEENS5_IJNST_IJLi1ELi2EEEESX_SY_NST_IJLi5ELi6EEEES11_EEENST_IJLi5ELi7ELi6EEEElEENSB_INS5_IJSK_SP_SP_EEENS5_IJSU_SV_SW_EEENS5_IJS1M_SX_SY_EEENST_IJLi3ELi4EEEElEELi128ELi128ELi16ELi2ELi4ELi4ELi1ENST_IJLi8ELi2EEEES1W_NST_IJLi8ELi1ELi1ELi2EEEENST_IJLi2ELi1ELi128ELi1EEEENST_IJLi1ELi2ELi0ELi3EEEES1Z_NST_IJLi4ELi1ELi1ELi2EEEES1Z_NST_IJLi1ELi1ELi1ELi2EEEES1X_S1Y_S1Z_S1Z_S20_S1Z_S21_NST_IJLi0ELi1ELi2ELi3ELi4ELi5EEEELi5ELi4EEEDF16_NS5_IJPKDF16_EEEDF16_S8_S8_S9_NSB_INS5_IJSE_SG_SI_SI_SG_SG_SK_SK_SG_SN_SN_SP_SP_SR_SG_SG_NSQ_INS5_IJiNS_17integral_constantIiLi128EEEEEELb0EEENSF_INS27_IiLi2EEEEEEEENS5_IJSU_SV_SW_SX_SY_SZ_S10_S11_S12_S13_S14_S15_S16_S17_S18_NST_IJLi19EEEES1G_NST_IJLi20EEEEEEENS5_IJS1A_SZ_S10_S11_S12_S1B_S1C_S1D_S1E_S15_S16_S18_S17_S1F_S1G_NST_IJLi22EEEENST_IJLi23ELi24EEEENST_IJLi25EEEEEEENST_IJLi22ELi23ELi24ELi25EEEElEENSB_INS5_IJSR_SP_SP_SR_SG_SG_S2A_S2C_EEENS5_IJSU_SV_SW_SY_SX_SZ_S11_S10_EEENS5_IJS1M_SX_SY_S1N_S11_S12_NST_IJLi9ELi10EEEENST_IJLi11EEEEEEENST_IJLi8ELi9ELi10ELi11EEEElEENS5_IJNSB_INS5_IJSK_SP_SP_NSQ_INS5_IJiS2B_NS27_IiLi64EEEEEELb0EEES2W_EEENS5_IJSU_SV_SW_SX_SY_EEENS5_IJS1M_SX_SY_NST_IJLi5ELi6ELi7EEEENST_IJLi8ELi9ELi10EEEEEEENST_IJLi5ELi6ELi7ELi8ELi9ELi10EEEElEEEEES33_NS_31BlockToCTileMap_M00_N00_M01_N01ILi128ELi128ES1V_Lb0EEENS1_30ComputePtrOffsetOfStridedBatchILi1ELi1ELi1EvEELb0ELb1EEEvPKT0_S3B_T1_PT2_T3_T4_T5_iT6_T7_T8_T9_T10_T11_
                                        ; -- End function
	.set _ZN2ck16tensor_operation6device12_GLOBAL__N_137kernel_grouped_conv_fwd_dl_multiple_dINS_32GridwiseGemmDlMultipleD_km_kn_mnILi256EDF16_fNS_5TupleIJDF16_EEEDF16_NS0_12element_wise11PassThroughES8_NS7_7AddReluELNS_25InMemoryDataOperationEnumE0ENS_16TensorDescriptorINS5_IJNS_5EmbedINS5_IJiiiiEEESD_Lb0EEENS_11PassThroughIiEENS_3PadIiiiLb0EEESI_SG_SG_NSC_INS5_IJiiEEESJ_Lb0EEESK_SG_NS_23Merge_v2_magic_divisionINS5_IJiiiEEEEESN_NS_8RightPadIiiLb0EEESP_NS_7UnMergeISJ_Lb0EEESG_EEENS5_IJNS_8SequenceIJLi0EEEENST_IJLi1EEEENST_IJLi2EEEENST_IJLi3EEEENST_IJLi4EEEENST_IJLi5EEEENST_IJLi6EEEENST_IJLi7EEEENST_IJLi8EEEENST_IJLi9ELi11ELi13EEEENST_IJLi10ELi12ELi14EEEENST_IJLi15EEEENST_IJLi16EEEENST_IJLi18EEEENST_IJLi17EEEEEEENS5_IJNST_IJLi1ELi2ELi3ELi4EEEESZ_S10_S11_S12_NST_IJLi9EEEENST_IJLi10ELi11EEEENST_IJLi12ELi13EEEENST_IJLi14EEEES15_S16_S18_S17_NST_IJLi19ELi20EEEENST_IJLi21EEEEEEENST_IJLi19ELi21ELi20EEEElEENSB_INS5_IJSR_SP_SP_SR_SG_EEENS5_IJSU_SV_SW_SY_SX_EEENS5_IJNST_IJLi1ELi2EEEESX_SY_NST_IJLi5ELi6EEEES11_EEENST_IJLi5ELi7ELi6EEEElEENSB_INS5_IJSK_SP_SP_EEENS5_IJSU_SV_SW_EEENS5_IJS1M_SX_SY_EEENST_IJLi3ELi4EEEElEELi128ELi128ELi16ELi2ELi4ELi4ELi1ENST_IJLi8ELi2EEEES1W_NST_IJLi8ELi1ELi1ELi2EEEENST_IJLi2ELi1ELi128ELi1EEEENST_IJLi1ELi2ELi0ELi3EEEES1Z_NST_IJLi4ELi1ELi1ELi2EEEES1Z_NST_IJLi1ELi1ELi1ELi2EEEES1X_S1Y_S1Z_S1Z_S20_S1Z_S21_NST_IJLi0ELi1ELi2ELi3ELi4ELi5EEEELi5ELi4EEEDF16_NS5_IJPKDF16_EEEDF16_S8_S8_S9_NSB_INS5_IJSE_SG_SI_SI_SG_SG_SK_SK_SG_SN_SN_SP_SP_SR_SG_SG_NSQ_INS5_IJiNS_17integral_constantIiLi128EEEEEELb0EEENSF_INS27_IiLi2EEEEEEEENS5_IJSU_SV_SW_SX_SY_SZ_S10_S11_S12_S13_S14_S15_S16_S17_S18_NST_IJLi19EEEES1G_NST_IJLi20EEEEEEENS5_IJS1A_SZ_S10_S11_S12_S1B_S1C_S1D_S1E_S15_S16_S18_S17_S1F_S1G_NST_IJLi22EEEENST_IJLi23ELi24EEEENST_IJLi25EEEEEEENST_IJLi22ELi23ELi24ELi25EEEElEENSB_INS5_IJSR_SP_SP_SR_SG_SG_S2A_S2C_EEENS5_IJSU_SV_SW_SY_SX_SZ_S11_S10_EEENS5_IJS1M_SX_SY_S1N_S11_S12_NST_IJLi9ELi10EEEENST_IJLi11EEEEEEENST_IJLi8ELi9ELi10ELi11EEEElEENS5_IJNSB_INS5_IJSK_SP_SP_NSQ_INS5_IJiS2B_NS27_IiLi64EEEEEELb0EEES2W_EEENS5_IJSU_SV_SW_SX_SY_EEENS5_IJS1M_SX_SY_NST_IJLi5ELi6ELi7EEEENST_IJLi8ELi9ELi10EEEEEEENST_IJLi5ELi6ELi7ELi8ELi9ELi10EEEElEEEEES33_NS_31BlockToCTileMap_M00_N00_M01_N01ILi128ELi128ES1V_Lb0EEENS1_30ComputePtrOffsetOfStridedBatchILi1ELi1ELi1EvEELb0ELb1EEEvPKT0_S3B_T1_PT2_T3_T4_T5_iT6_T7_T8_T9_T10_T11_.num_vgpr, 121
	.set _ZN2ck16tensor_operation6device12_GLOBAL__N_137kernel_grouped_conv_fwd_dl_multiple_dINS_32GridwiseGemmDlMultipleD_km_kn_mnILi256EDF16_fNS_5TupleIJDF16_EEEDF16_NS0_12element_wise11PassThroughES8_NS7_7AddReluELNS_25InMemoryDataOperationEnumE0ENS_16TensorDescriptorINS5_IJNS_5EmbedINS5_IJiiiiEEESD_Lb0EEENS_11PassThroughIiEENS_3PadIiiiLb0EEESI_SG_SG_NSC_INS5_IJiiEEESJ_Lb0EEESK_SG_NS_23Merge_v2_magic_divisionINS5_IJiiiEEEEESN_NS_8RightPadIiiLb0EEESP_NS_7UnMergeISJ_Lb0EEESG_EEENS5_IJNS_8SequenceIJLi0EEEENST_IJLi1EEEENST_IJLi2EEEENST_IJLi3EEEENST_IJLi4EEEENST_IJLi5EEEENST_IJLi6EEEENST_IJLi7EEEENST_IJLi8EEEENST_IJLi9ELi11ELi13EEEENST_IJLi10ELi12ELi14EEEENST_IJLi15EEEENST_IJLi16EEEENST_IJLi18EEEENST_IJLi17EEEEEEENS5_IJNST_IJLi1ELi2ELi3ELi4EEEESZ_S10_S11_S12_NST_IJLi9EEEENST_IJLi10ELi11EEEENST_IJLi12ELi13EEEENST_IJLi14EEEES15_S16_S18_S17_NST_IJLi19ELi20EEEENST_IJLi21EEEEEEENST_IJLi19ELi21ELi20EEEElEENSB_INS5_IJSR_SP_SP_SR_SG_EEENS5_IJSU_SV_SW_SY_SX_EEENS5_IJNST_IJLi1ELi2EEEESX_SY_NST_IJLi5ELi6EEEES11_EEENST_IJLi5ELi7ELi6EEEElEENSB_INS5_IJSK_SP_SP_EEENS5_IJSU_SV_SW_EEENS5_IJS1M_SX_SY_EEENST_IJLi3ELi4EEEElEELi128ELi128ELi16ELi2ELi4ELi4ELi1ENST_IJLi8ELi2EEEES1W_NST_IJLi8ELi1ELi1ELi2EEEENST_IJLi2ELi1ELi128ELi1EEEENST_IJLi1ELi2ELi0ELi3EEEES1Z_NST_IJLi4ELi1ELi1ELi2EEEES1Z_NST_IJLi1ELi1ELi1ELi2EEEES1X_S1Y_S1Z_S1Z_S20_S1Z_S21_NST_IJLi0ELi1ELi2ELi3ELi4ELi5EEEELi5ELi4EEEDF16_NS5_IJPKDF16_EEEDF16_S8_S8_S9_NSB_INS5_IJSE_SG_SI_SI_SG_SG_SK_SK_SG_SN_SN_SP_SP_SR_SG_SG_NSQ_INS5_IJiNS_17integral_constantIiLi128EEEEEELb0EEENSF_INS27_IiLi2EEEEEEEENS5_IJSU_SV_SW_SX_SY_SZ_S10_S11_S12_S13_S14_S15_S16_S17_S18_NST_IJLi19EEEES1G_NST_IJLi20EEEEEEENS5_IJS1A_SZ_S10_S11_S12_S1B_S1C_S1D_S1E_S15_S16_S18_S17_S1F_S1G_NST_IJLi22EEEENST_IJLi23ELi24EEEENST_IJLi25EEEEEEENST_IJLi22ELi23ELi24ELi25EEEElEENSB_INS5_IJSR_SP_SP_SR_SG_SG_S2A_S2C_EEENS5_IJSU_SV_SW_SY_SX_SZ_S11_S10_EEENS5_IJS1M_SX_SY_S1N_S11_S12_NST_IJLi9ELi10EEEENST_IJLi11EEEEEEENST_IJLi8ELi9ELi10ELi11EEEElEENS5_IJNSB_INS5_IJSK_SP_SP_NSQ_INS5_IJiS2B_NS27_IiLi64EEEEEELb0EEES2W_EEENS5_IJSU_SV_SW_SX_SY_EEENS5_IJS1M_SX_SY_NST_IJLi5ELi6ELi7EEEENST_IJLi8ELi9ELi10EEEEEEENST_IJLi5ELi6ELi7ELi8ELi9ELi10EEEElEEEEES33_NS_31BlockToCTileMap_M00_N00_M01_N01ILi128ELi128ES1V_Lb0EEENS1_30ComputePtrOffsetOfStridedBatchILi1ELi1ELi1EvEELb0ELb1EEEvPKT0_S3B_T1_PT2_T3_T4_T5_iT6_T7_T8_T9_T10_T11_.num_agpr, 0
	.set _ZN2ck16tensor_operation6device12_GLOBAL__N_137kernel_grouped_conv_fwd_dl_multiple_dINS_32GridwiseGemmDlMultipleD_km_kn_mnILi256EDF16_fNS_5TupleIJDF16_EEEDF16_NS0_12element_wise11PassThroughES8_NS7_7AddReluELNS_25InMemoryDataOperationEnumE0ENS_16TensorDescriptorINS5_IJNS_5EmbedINS5_IJiiiiEEESD_Lb0EEENS_11PassThroughIiEENS_3PadIiiiLb0EEESI_SG_SG_NSC_INS5_IJiiEEESJ_Lb0EEESK_SG_NS_23Merge_v2_magic_divisionINS5_IJiiiEEEEESN_NS_8RightPadIiiLb0EEESP_NS_7UnMergeISJ_Lb0EEESG_EEENS5_IJNS_8SequenceIJLi0EEEENST_IJLi1EEEENST_IJLi2EEEENST_IJLi3EEEENST_IJLi4EEEENST_IJLi5EEEENST_IJLi6EEEENST_IJLi7EEEENST_IJLi8EEEENST_IJLi9ELi11ELi13EEEENST_IJLi10ELi12ELi14EEEENST_IJLi15EEEENST_IJLi16EEEENST_IJLi18EEEENST_IJLi17EEEEEEENS5_IJNST_IJLi1ELi2ELi3ELi4EEEESZ_S10_S11_S12_NST_IJLi9EEEENST_IJLi10ELi11EEEENST_IJLi12ELi13EEEENST_IJLi14EEEES15_S16_S18_S17_NST_IJLi19ELi20EEEENST_IJLi21EEEEEEENST_IJLi19ELi21ELi20EEEElEENSB_INS5_IJSR_SP_SP_SR_SG_EEENS5_IJSU_SV_SW_SY_SX_EEENS5_IJNST_IJLi1ELi2EEEESX_SY_NST_IJLi5ELi6EEEES11_EEENST_IJLi5ELi7ELi6EEEElEENSB_INS5_IJSK_SP_SP_EEENS5_IJSU_SV_SW_EEENS5_IJS1M_SX_SY_EEENST_IJLi3ELi4EEEElEELi128ELi128ELi16ELi2ELi4ELi4ELi1ENST_IJLi8ELi2EEEES1W_NST_IJLi8ELi1ELi1ELi2EEEENST_IJLi2ELi1ELi128ELi1EEEENST_IJLi1ELi2ELi0ELi3EEEES1Z_NST_IJLi4ELi1ELi1ELi2EEEES1Z_NST_IJLi1ELi1ELi1ELi2EEEES1X_S1Y_S1Z_S1Z_S20_S1Z_S21_NST_IJLi0ELi1ELi2ELi3ELi4ELi5EEEELi5ELi4EEEDF16_NS5_IJPKDF16_EEEDF16_S8_S8_S9_NSB_INS5_IJSE_SG_SI_SI_SG_SG_SK_SK_SG_SN_SN_SP_SP_SR_SG_SG_NSQ_INS5_IJiNS_17integral_constantIiLi128EEEEEELb0EEENSF_INS27_IiLi2EEEEEEEENS5_IJSU_SV_SW_SX_SY_SZ_S10_S11_S12_S13_S14_S15_S16_S17_S18_NST_IJLi19EEEES1G_NST_IJLi20EEEEEEENS5_IJS1A_SZ_S10_S11_S12_S1B_S1C_S1D_S1E_S15_S16_S18_S17_S1F_S1G_NST_IJLi22EEEENST_IJLi23ELi24EEEENST_IJLi25EEEEEEENST_IJLi22ELi23ELi24ELi25EEEElEENSB_INS5_IJSR_SP_SP_SR_SG_SG_S2A_S2C_EEENS5_IJSU_SV_SW_SY_SX_SZ_S11_S10_EEENS5_IJS1M_SX_SY_S1N_S11_S12_NST_IJLi9ELi10EEEENST_IJLi11EEEEEEENST_IJLi8ELi9ELi10ELi11EEEElEENS5_IJNSB_INS5_IJSK_SP_SP_NSQ_INS5_IJiS2B_NS27_IiLi64EEEEEELb0EEES2W_EEENS5_IJSU_SV_SW_SX_SY_EEENS5_IJS1M_SX_SY_NST_IJLi5ELi6ELi7EEEENST_IJLi8ELi9ELi10EEEEEEENST_IJLi5ELi6ELi7ELi8ELi9ELi10EEEElEEEEES33_NS_31BlockToCTileMap_M00_N00_M01_N01ILi128ELi128ES1V_Lb0EEENS1_30ComputePtrOffsetOfStridedBatchILi1ELi1ELi1EvEELb0ELb1EEEvPKT0_S3B_T1_PT2_T3_T4_T5_iT6_T7_T8_T9_T10_T11_.numbered_sgpr, 62
	.set _ZN2ck16tensor_operation6device12_GLOBAL__N_137kernel_grouped_conv_fwd_dl_multiple_dINS_32GridwiseGemmDlMultipleD_km_kn_mnILi256EDF16_fNS_5TupleIJDF16_EEEDF16_NS0_12element_wise11PassThroughES8_NS7_7AddReluELNS_25InMemoryDataOperationEnumE0ENS_16TensorDescriptorINS5_IJNS_5EmbedINS5_IJiiiiEEESD_Lb0EEENS_11PassThroughIiEENS_3PadIiiiLb0EEESI_SG_SG_NSC_INS5_IJiiEEESJ_Lb0EEESK_SG_NS_23Merge_v2_magic_divisionINS5_IJiiiEEEEESN_NS_8RightPadIiiLb0EEESP_NS_7UnMergeISJ_Lb0EEESG_EEENS5_IJNS_8SequenceIJLi0EEEENST_IJLi1EEEENST_IJLi2EEEENST_IJLi3EEEENST_IJLi4EEEENST_IJLi5EEEENST_IJLi6EEEENST_IJLi7EEEENST_IJLi8EEEENST_IJLi9ELi11ELi13EEEENST_IJLi10ELi12ELi14EEEENST_IJLi15EEEENST_IJLi16EEEENST_IJLi18EEEENST_IJLi17EEEEEEENS5_IJNST_IJLi1ELi2ELi3ELi4EEEESZ_S10_S11_S12_NST_IJLi9EEEENST_IJLi10ELi11EEEENST_IJLi12ELi13EEEENST_IJLi14EEEES15_S16_S18_S17_NST_IJLi19ELi20EEEENST_IJLi21EEEEEEENST_IJLi19ELi21ELi20EEEElEENSB_INS5_IJSR_SP_SP_SR_SG_EEENS5_IJSU_SV_SW_SY_SX_EEENS5_IJNST_IJLi1ELi2EEEESX_SY_NST_IJLi5ELi6EEEES11_EEENST_IJLi5ELi7ELi6EEEElEENSB_INS5_IJSK_SP_SP_EEENS5_IJSU_SV_SW_EEENS5_IJS1M_SX_SY_EEENST_IJLi3ELi4EEEElEELi128ELi128ELi16ELi2ELi4ELi4ELi1ENST_IJLi8ELi2EEEES1W_NST_IJLi8ELi1ELi1ELi2EEEENST_IJLi2ELi1ELi128ELi1EEEENST_IJLi1ELi2ELi0ELi3EEEES1Z_NST_IJLi4ELi1ELi1ELi2EEEES1Z_NST_IJLi1ELi1ELi1ELi2EEEES1X_S1Y_S1Z_S1Z_S20_S1Z_S21_NST_IJLi0ELi1ELi2ELi3ELi4ELi5EEEELi5ELi4EEEDF16_NS5_IJPKDF16_EEEDF16_S8_S8_S9_NSB_INS5_IJSE_SG_SI_SI_SG_SG_SK_SK_SG_SN_SN_SP_SP_SR_SG_SG_NSQ_INS5_IJiNS_17integral_constantIiLi128EEEEEELb0EEENSF_INS27_IiLi2EEEEEEEENS5_IJSU_SV_SW_SX_SY_SZ_S10_S11_S12_S13_S14_S15_S16_S17_S18_NST_IJLi19EEEES1G_NST_IJLi20EEEEEEENS5_IJS1A_SZ_S10_S11_S12_S1B_S1C_S1D_S1E_S15_S16_S18_S17_S1F_S1G_NST_IJLi22EEEENST_IJLi23ELi24EEEENST_IJLi25EEEEEEENST_IJLi22ELi23ELi24ELi25EEEElEENSB_INS5_IJSR_SP_SP_SR_SG_SG_S2A_S2C_EEENS5_IJSU_SV_SW_SY_SX_SZ_S11_S10_EEENS5_IJS1M_SX_SY_S1N_S11_S12_NST_IJLi9ELi10EEEENST_IJLi11EEEEEEENST_IJLi8ELi9ELi10ELi11EEEElEENS5_IJNSB_INS5_IJSK_SP_SP_NSQ_INS5_IJiS2B_NS27_IiLi64EEEEEELb0EEES2W_EEENS5_IJSU_SV_SW_SX_SY_EEENS5_IJS1M_SX_SY_NST_IJLi5ELi6ELi7EEEENST_IJLi8ELi9ELi10EEEEEEENST_IJLi5ELi6ELi7ELi8ELi9ELi10EEEElEEEEES33_NS_31BlockToCTileMap_M00_N00_M01_N01ILi128ELi128ES1V_Lb0EEENS1_30ComputePtrOffsetOfStridedBatchILi1ELi1ELi1EvEELb0ELb1EEEvPKT0_S3B_T1_PT2_T3_T4_T5_iT6_T7_T8_T9_T10_T11_.num_named_barrier, 0
	.set _ZN2ck16tensor_operation6device12_GLOBAL__N_137kernel_grouped_conv_fwd_dl_multiple_dINS_32GridwiseGemmDlMultipleD_km_kn_mnILi256EDF16_fNS_5TupleIJDF16_EEEDF16_NS0_12element_wise11PassThroughES8_NS7_7AddReluELNS_25InMemoryDataOperationEnumE0ENS_16TensorDescriptorINS5_IJNS_5EmbedINS5_IJiiiiEEESD_Lb0EEENS_11PassThroughIiEENS_3PadIiiiLb0EEESI_SG_SG_NSC_INS5_IJiiEEESJ_Lb0EEESK_SG_NS_23Merge_v2_magic_divisionINS5_IJiiiEEEEESN_NS_8RightPadIiiLb0EEESP_NS_7UnMergeISJ_Lb0EEESG_EEENS5_IJNS_8SequenceIJLi0EEEENST_IJLi1EEEENST_IJLi2EEEENST_IJLi3EEEENST_IJLi4EEEENST_IJLi5EEEENST_IJLi6EEEENST_IJLi7EEEENST_IJLi8EEEENST_IJLi9ELi11ELi13EEEENST_IJLi10ELi12ELi14EEEENST_IJLi15EEEENST_IJLi16EEEENST_IJLi18EEEENST_IJLi17EEEEEEENS5_IJNST_IJLi1ELi2ELi3ELi4EEEESZ_S10_S11_S12_NST_IJLi9EEEENST_IJLi10ELi11EEEENST_IJLi12ELi13EEEENST_IJLi14EEEES15_S16_S18_S17_NST_IJLi19ELi20EEEENST_IJLi21EEEEEEENST_IJLi19ELi21ELi20EEEElEENSB_INS5_IJSR_SP_SP_SR_SG_EEENS5_IJSU_SV_SW_SY_SX_EEENS5_IJNST_IJLi1ELi2EEEESX_SY_NST_IJLi5ELi6EEEES11_EEENST_IJLi5ELi7ELi6EEEElEENSB_INS5_IJSK_SP_SP_EEENS5_IJSU_SV_SW_EEENS5_IJS1M_SX_SY_EEENST_IJLi3ELi4EEEElEELi128ELi128ELi16ELi2ELi4ELi4ELi1ENST_IJLi8ELi2EEEES1W_NST_IJLi8ELi1ELi1ELi2EEEENST_IJLi2ELi1ELi128ELi1EEEENST_IJLi1ELi2ELi0ELi3EEEES1Z_NST_IJLi4ELi1ELi1ELi2EEEES1Z_NST_IJLi1ELi1ELi1ELi2EEEES1X_S1Y_S1Z_S1Z_S20_S1Z_S21_NST_IJLi0ELi1ELi2ELi3ELi4ELi5EEEELi5ELi4EEEDF16_NS5_IJPKDF16_EEEDF16_S8_S8_S9_NSB_INS5_IJSE_SG_SI_SI_SG_SG_SK_SK_SG_SN_SN_SP_SP_SR_SG_SG_NSQ_INS5_IJiNS_17integral_constantIiLi128EEEEEELb0EEENSF_INS27_IiLi2EEEEEEEENS5_IJSU_SV_SW_SX_SY_SZ_S10_S11_S12_S13_S14_S15_S16_S17_S18_NST_IJLi19EEEES1G_NST_IJLi20EEEEEEENS5_IJS1A_SZ_S10_S11_S12_S1B_S1C_S1D_S1E_S15_S16_S18_S17_S1F_S1G_NST_IJLi22EEEENST_IJLi23ELi24EEEENST_IJLi25EEEEEEENST_IJLi22ELi23ELi24ELi25EEEElEENSB_INS5_IJSR_SP_SP_SR_SG_SG_S2A_S2C_EEENS5_IJSU_SV_SW_SY_SX_SZ_S11_S10_EEENS5_IJS1M_SX_SY_S1N_S11_S12_NST_IJLi9ELi10EEEENST_IJLi11EEEEEEENST_IJLi8ELi9ELi10ELi11EEEElEENS5_IJNSB_INS5_IJSK_SP_SP_NSQ_INS5_IJiS2B_NS27_IiLi64EEEEEELb0EEES2W_EEENS5_IJSU_SV_SW_SX_SY_EEENS5_IJS1M_SX_SY_NST_IJLi5ELi6ELi7EEEENST_IJLi8ELi9ELi10EEEEEEENST_IJLi5ELi6ELi7ELi8ELi9ELi10EEEElEEEEES33_NS_31BlockToCTileMap_M00_N00_M01_N01ILi128ELi128ES1V_Lb0EEENS1_30ComputePtrOffsetOfStridedBatchILi1ELi1ELi1EvEELb0ELb1EEEvPKT0_S3B_T1_PT2_T3_T4_T5_iT6_T7_T8_T9_T10_T11_.private_seg_size, 0
	.set _ZN2ck16tensor_operation6device12_GLOBAL__N_137kernel_grouped_conv_fwd_dl_multiple_dINS_32GridwiseGemmDlMultipleD_km_kn_mnILi256EDF16_fNS_5TupleIJDF16_EEEDF16_NS0_12element_wise11PassThroughES8_NS7_7AddReluELNS_25InMemoryDataOperationEnumE0ENS_16TensorDescriptorINS5_IJNS_5EmbedINS5_IJiiiiEEESD_Lb0EEENS_11PassThroughIiEENS_3PadIiiiLb0EEESI_SG_SG_NSC_INS5_IJiiEEESJ_Lb0EEESK_SG_NS_23Merge_v2_magic_divisionINS5_IJiiiEEEEESN_NS_8RightPadIiiLb0EEESP_NS_7UnMergeISJ_Lb0EEESG_EEENS5_IJNS_8SequenceIJLi0EEEENST_IJLi1EEEENST_IJLi2EEEENST_IJLi3EEEENST_IJLi4EEEENST_IJLi5EEEENST_IJLi6EEEENST_IJLi7EEEENST_IJLi8EEEENST_IJLi9ELi11ELi13EEEENST_IJLi10ELi12ELi14EEEENST_IJLi15EEEENST_IJLi16EEEENST_IJLi18EEEENST_IJLi17EEEEEEENS5_IJNST_IJLi1ELi2ELi3ELi4EEEESZ_S10_S11_S12_NST_IJLi9EEEENST_IJLi10ELi11EEEENST_IJLi12ELi13EEEENST_IJLi14EEEES15_S16_S18_S17_NST_IJLi19ELi20EEEENST_IJLi21EEEEEEENST_IJLi19ELi21ELi20EEEElEENSB_INS5_IJSR_SP_SP_SR_SG_EEENS5_IJSU_SV_SW_SY_SX_EEENS5_IJNST_IJLi1ELi2EEEESX_SY_NST_IJLi5ELi6EEEES11_EEENST_IJLi5ELi7ELi6EEEElEENSB_INS5_IJSK_SP_SP_EEENS5_IJSU_SV_SW_EEENS5_IJS1M_SX_SY_EEENST_IJLi3ELi4EEEElEELi128ELi128ELi16ELi2ELi4ELi4ELi1ENST_IJLi8ELi2EEEES1W_NST_IJLi8ELi1ELi1ELi2EEEENST_IJLi2ELi1ELi128ELi1EEEENST_IJLi1ELi2ELi0ELi3EEEES1Z_NST_IJLi4ELi1ELi1ELi2EEEES1Z_NST_IJLi1ELi1ELi1ELi2EEEES1X_S1Y_S1Z_S1Z_S20_S1Z_S21_NST_IJLi0ELi1ELi2ELi3ELi4ELi5EEEELi5ELi4EEEDF16_NS5_IJPKDF16_EEEDF16_S8_S8_S9_NSB_INS5_IJSE_SG_SI_SI_SG_SG_SK_SK_SG_SN_SN_SP_SP_SR_SG_SG_NSQ_INS5_IJiNS_17integral_constantIiLi128EEEEEELb0EEENSF_INS27_IiLi2EEEEEEEENS5_IJSU_SV_SW_SX_SY_SZ_S10_S11_S12_S13_S14_S15_S16_S17_S18_NST_IJLi19EEEES1G_NST_IJLi20EEEEEEENS5_IJS1A_SZ_S10_S11_S12_S1B_S1C_S1D_S1E_S15_S16_S18_S17_S1F_S1G_NST_IJLi22EEEENST_IJLi23ELi24EEEENST_IJLi25EEEEEEENST_IJLi22ELi23ELi24ELi25EEEElEENSB_INS5_IJSR_SP_SP_SR_SG_SG_S2A_S2C_EEENS5_IJSU_SV_SW_SY_SX_SZ_S11_S10_EEENS5_IJS1M_SX_SY_S1N_S11_S12_NST_IJLi9ELi10EEEENST_IJLi11EEEEEEENST_IJLi8ELi9ELi10ELi11EEEElEENS5_IJNSB_INS5_IJSK_SP_SP_NSQ_INS5_IJiS2B_NS27_IiLi64EEEEEELb0EEES2W_EEENS5_IJSU_SV_SW_SX_SY_EEENS5_IJS1M_SX_SY_NST_IJLi5ELi6ELi7EEEENST_IJLi8ELi9ELi10EEEEEEENST_IJLi5ELi6ELi7ELi8ELi9ELi10EEEElEEEEES33_NS_31BlockToCTileMap_M00_N00_M01_N01ILi128ELi128ES1V_Lb0EEENS1_30ComputePtrOffsetOfStridedBatchILi1ELi1ELi1EvEELb0ELb1EEEvPKT0_S3B_T1_PT2_T3_T4_T5_iT6_T7_T8_T9_T10_T11_.uses_vcc, 1
	.set _ZN2ck16tensor_operation6device12_GLOBAL__N_137kernel_grouped_conv_fwd_dl_multiple_dINS_32GridwiseGemmDlMultipleD_km_kn_mnILi256EDF16_fNS_5TupleIJDF16_EEEDF16_NS0_12element_wise11PassThroughES8_NS7_7AddReluELNS_25InMemoryDataOperationEnumE0ENS_16TensorDescriptorINS5_IJNS_5EmbedINS5_IJiiiiEEESD_Lb0EEENS_11PassThroughIiEENS_3PadIiiiLb0EEESI_SG_SG_NSC_INS5_IJiiEEESJ_Lb0EEESK_SG_NS_23Merge_v2_magic_divisionINS5_IJiiiEEEEESN_NS_8RightPadIiiLb0EEESP_NS_7UnMergeISJ_Lb0EEESG_EEENS5_IJNS_8SequenceIJLi0EEEENST_IJLi1EEEENST_IJLi2EEEENST_IJLi3EEEENST_IJLi4EEEENST_IJLi5EEEENST_IJLi6EEEENST_IJLi7EEEENST_IJLi8EEEENST_IJLi9ELi11ELi13EEEENST_IJLi10ELi12ELi14EEEENST_IJLi15EEEENST_IJLi16EEEENST_IJLi18EEEENST_IJLi17EEEEEEENS5_IJNST_IJLi1ELi2ELi3ELi4EEEESZ_S10_S11_S12_NST_IJLi9EEEENST_IJLi10ELi11EEEENST_IJLi12ELi13EEEENST_IJLi14EEEES15_S16_S18_S17_NST_IJLi19ELi20EEEENST_IJLi21EEEEEEENST_IJLi19ELi21ELi20EEEElEENSB_INS5_IJSR_SP_SP_SR_SG_EEENS5_IJSU_SV_SW_SY_SX_EEENS5_IJNST_IJLi1ELi2EEEESX_SY_NST_IJLi5ELi6EEEES11_EEENST_IJLi5ELi7ELi6EEEElEENSB_INS5_IJSK_SP_SP_EEENS5_IJSU_SV_SW_EEENS5_IJS1M_SX_SY_EEENST_IJLi3ELi4EEEElEELi128ELi128ELi16ELi2ELi4ELi4ELi1ENST_IJLi8ELi2EEEES1W_NST_IJLi8ELi1ELi1ELi2EEEENST_IJLi2ELi1ELi128ELi1EEEENST_IJLi1ELi2ELi0ELi3EEEES1Z_NST_IJLi4ELi1ELi1ELi2EEEES1Z_NST_IJLi1ELi1ELi1ELi2EEEES1X_S1Y_S1Z_S1Z_S20_S1Z_S21_NST_IJLi0ELi1ELi2ELi3ELi4ELi5EEEELi5ELi4EEEDF16_NS5_IJPKDF16_EEEDF16_S8_S8_S9_NSB_INS5_IJSE_SG_SI_SI_SG_SG_SK_SK_SG_SN_SN_SP_SP_SR_SG_SG_NSQ_INS5_IJiNS_17integral_constantIiLi128EEEEEELb0EEENSF_INS27_IiLi2EEEEEEEENS5_IJSU_SV_SW_SX_SY_SZ_S10_S11_S12_S13_S14_S15_S16_S17_S18_NST_IJLi19EEEES1G_NST_IJLi20EEEEEEENS5_IJS1A_SZ_S10_S11_S12_S1B_S1C_S1D_S1E_S15_S16_S18_S17_S1F_S1G_NST_IJLi22EEEENST_IJLi23ELi24EEEENST_IJLi25EEEEEEENST_IJLi22ELi23ELi24ELi25EEEElEENSB_INS5_IJSR_SP_SP_SR_SG_SG_S2A_S2C_EEENS5_IJSU_SV_SW_SY_SX_SZ_S11_S10_EEENS5_IJS1M_SX_SY_S1N_S11_S12_NST_IJLi9ELi10EEEENST_IJLi11EEEEEEENST_IJLi8ELi9ELi10ELi11EEEElEENS5_IJNSB_INS5_IJSK_SP_SP_NSQ_INS5_IJiS2B_NS27_IiLi64EEEEEELb0EEES2W_EEENS5_IJSU_SV_SW_SX_SY_EEENS5_IJS1M_SX_SY_NST_IJLi5ELi6ELi7EEEENST_IJLi8ELi9ELi10EEEEEEENST_IJLi5ELi6ELi7ELi8ELi9ELi10EEEElEEEEES33_NS_31BlockToCTileMap_M00_N00_M01_N01ILi128ELi128ES1V_Lb0EEENS1_30ComputePtrOffsetOfStridedBatchILi1ELi1ELi1EvEELb0ELb1EEEvPKT0_S3B_T1_PT2_T3_T4_T5_iT6_T7_T8_T9_T10_T11_.uses_flat_scratch, 0
	.set _ZN2ck16tensor_operation6device12_GLOBAL__N_137kernel_grouped_conv_fwd_dl_multiple_dINS_32GridwiseGemmDlMultipleD_km_kn_mnILi256EDF16_fNS_5TupleIJDF16_EEEDF16_NS0_12element_wise11PassThroughES8_NS7_7AddReluELNS_25InMemoryDataOperationEnumE0ENS_16TensorDescriptorINS5_IJNS_5EmbedINS5_IJiiiiEEESD_Lb0EEENS_11PassThroughIiEENS_3PadIiiiLb0EEESI_SG_SG_NSC_INS5_IJiiEEESJ_Lb0EEESK_SG_NS_23Merge_v2_magic_divisionINS5_IJiiiEEEEESN_NS_8RightPadIiiLb0EEESP_NS_7UnMergeISJ_Lb0EEESG_EEENS5_IJNS_8SequenceIJLi0EEEENST_IJLi1EEEENST_IJLi2EEEENST_IJLi3EEEENST_IJLi4EEEENST_IJLi5EEEENST_IJLi6EEEENST_IJLi7EEEENST_IJLi8EEEENST_IJLi9ELi11ELi13EEEENST_IJLi10ELi12ELi14EEEENST_IJLi15EEEENST_IJLi16EEEENST_IJLi18EEEENST_IJLi17EEEEEEENS5_IJNST_IJLi1ELi2ELi3ELi4EEEESZ_S10_S11_S12_NST_IJLi9EEEENST_IJLi10ELi11EEEENST_IJLi12ELi13EEEENST_IJLi14EEEES15_S16_S18_S17_NST_IJLi19ELi20EEEENST_IJLi21EEEEEEENST_IJLi19ELi21ELi20EEEElEENSB_INS5_IJSR_SP_SP_SR_SG_EEENS5_IJSU_SV_SW_SY_SX_EEENS5_IJNST_IJLi1ELi2EEEESX_SY_NST_IJLi5ELi6EEEES11_EEENST_IJLi5ELi7ELi6EEEElEENSB_INS5_IJSK_SP_SP_EEENS5_IJSU_SV_SW_EEENS5_IJS1M_SX_SY_EEENST_IJLi3ELi4EEEElEELi128ELi128ELi16ELi2ELi4ELi4ELi1ENST_IJLi8ELi2EEEES1W_NST_IJLi8ELi1ELi1ELi2EEEENST_IJLi2ELi1ELi128ELi1EEEENST_IJLi1ELi2ELi0ELi3EEEES1Z_NST_IJLi4ELi1ELi1ELi2EEEES1Z_NST_IJLi1ELi1ELi1ELi2EEEES1X_S1Y_S1Z_S1Z_S20_S1Z_S21_NST_IJLi0ELi1ELi2ELi3ELi4ELi5EEEELi5ELi4EEEDF16_NS5_IJPKDF16_EEEDF16_S8_S8_S9_NSB_INS5_IJSE_SG_SI_SI_SG_SG_SK_SK_SG_SN_SN_SP_SP_SR_SG_SG_NSQ_INS5_IJiNS_17integral_constantIiLi128EEEEEELb0EEENSF_INS27_IiLi2EEEEEEEENS5_IJSU_SV_SW_SX_SY_SZ_S10_S11_S12_S13_S14_S15_S16_S17_S18_NST_IJLi19EEEES1G_NST_IJLi20EEEEEEENS5_IJS1A_SZ_S10_S11_S12_S1B_S1C_S1D_S1E_S15_S16_S18_S17_S1F_S1G_NST_IJLi22EEEENST_IJLi23ELi24EEEENST_IJLi25EEEEEEENST_IJLi22ELi23ELi24ELi25EEEElEENSB_INS5_IJSR_SP_SP_SR_SG_SG_S2A_S2C_EEENS5_IJSU_SV_SW_SY_SX_SZ_S11_S10_EEENS5_IJS1M_SX_SY_S1N_S11_S12_NST_IJLi9ELi10EEEENST_IJLi11EEEEEEENST_IJLi8ELi9ELi10ELi11EEEElEENS5_IJNSB_INS5_IJSK_SP_SP_NSQ_INS5_IJiS2B_NS27_IiLi64EEEEEELb0EEES2W_EEENS5_IJSU_SV_SW_SX_SY_EEENS5_IJS1M_SX_SY_NST_IJLi5ELi6ELi7EEEENST_IJLi8ELi9ELi10EEEEEEENST_IJLi5ELi6ELi7ELi8ELi9ELi10EEEElEEEEES33_NS_31BlockToCTileMap_M00_N00_M01_N01ILi128ELi128ES1V_Lb0EEENS1_30ComputePtrOffsetOfStridedBatchILi1ELi1ELi1EvEELb0ELb1EEEvPKT0_S3B_T1_PT2_T3_T4_T5_iT6_T7_T8_T9_T10_T11_.has_dyn_sized_stack, 0
	.set _ZN2ck16tensor_operation6device12_GLOBAL__N_137kernel_grouped_conv_fwd_dl_multiple_dINS_32GridwiseGemmDlMultipleD_km_kn_mnILi256EDF16_fNS_5TupleIJDF16_EEEDF16_NS0_12element_wise11PassThroughES8_NS7_7AddReluELNS_25InMemoryDataOperationEnumE0ENS_16TensorDescriptorINS5_IJNS_5EmbedINS5_IJiiiiEEESD_Lb0EEENS_11PassThroughIiEENS_3PadIiiiLb0EEESI_SG_SG_NSC_INS5_IJiiEEESJ_Lb0EEESK_SG_NS_23Merge_v2_magic_divisionINS5_IJiiiEEEEESN_NS_8RightPadIiiLb0EEESP_NS_7UnMergeISJ_Lb0EEESG_EEENS5_IJNS_8SequenceIJLi0EEEENST_IJLi1EEEENST_IJLi2EEEENST_IJLi3EEEENST_IJLi4EEEENST_IJLi5EEEENST_IJLi6EEEENST_IJLi7EEEENST_IJLi8EEEENST_IJLi9ELi11ELi13EEEENST_IJLi10ELi12ELi14EEEENST_IJLi15EEEENST_IJLi16EEEENST_IJLi18EEEENST_IJLi17EEEEEEENS5_IJNST_IJLi1ELi2ELi3ELi4EEEESZ_S10_S11_S12_NST_IJLi9EEEENST_IJLi10ELi11EEEENST_IJLi12ELi13EEEENST_IJLi14EEEES15_S16_S18_S17_NST_IJLi19ELi20EEEENST_IJLi21EEEEEEENST_IJLi19ELi21ELi20EEEElEENSB_INS5_IJSR_SP_SP_SR_SG_EEENS5_IJSU_SV_SW_SY_SX_EEENS5_IJNST_IJLi1ELi2EEEESX_SY_NST_IJLi5ELi6EEEES11_EEENST_IJLi5ELi7ELi6EEEElEENSB_INS5_IJSK_SP_SP_EEENS5_IJSU_SV_SW_EEENS5_IJS1M_SX_SY_EEENST_IJLi3ELi4EEEElEELi128ELi128ELi16ELi2ELi4ELi4ELi1ENST_IJLi8ELi2EEEES1W_NST_IJLi8ELi1ELi1ELi2EEEENST_IJLi2ELi1ELi128ELi1EEEENST_IJLi1ELi2ELi0ELi3EEEES1Z_NST_IJLi4ELi1ELi1ELi2EEEES1Z_NST_IJLi1ELi1ELi1ELi2EEEES1X_S1Y_S1Z_S1Z_S20_S1Z_S21_NST_IJLi0ELi1ELi2ELi3ELi4ELi5EEEELi5ELi4EEEDF16_NS5_IJPKDF16_EEEDF16_S8_S8_S9_NSB_INS5_IJSE_SG_SI_SI_SG_SG_SK_SK_SG_SN_SN_SP_SP_SR_SG_SG_NSQ_INS5_IJiNS_17integral_constantIiLi128EEEEEELb0EEENSF_INS27_IiLi2EEEEEEEENS5_IJSU_SV_SW_SX_SY_SZ_S10_S11_S12_S13_S14_S15_S16_S17_S18_NST_IJLi19EEEES1G_NST_IJLi20EEEEEEENS5_IJS1A_SZ_S10_S11_S12_S1B_S1C_S1D_S1E_S15_S16_S18_S17_S1F_S1G_NST_IJLi22EEEENST_IJLi23ELi24EEEENST_IJLi25EEEEEEENST_IJLi22ELi23ELi24ELi25EEEElEENSB_INS5_IJSR_SP_SP_SR_SG_SG_S2A_S2C_EEENS5_IJSU_SV_SW_SY_SX_SZ_S11_S10_EEENS5_IJS1M_SX_SY_S1N_S11_S12_NST_IJLi9ELi10EEEENST_IJLi11EEEEEEENST_IJLi8ELi9ELi10ELi11EEEElEENS5_IJNSB_INS5_IJSK_SP_SP_NSQ_INS5_IJiS2B_NS27_IiLi64EEEEEELb0EEES2W_EEENS5_IJSU_SV_SW_SX_SY_EEENS5_IJS1M_SX_SY_NST_IJLi5ELi6ELi7EEEENST_IJLi8ELi9ELi10EEEEEEENST_IJLi5ELi6ELi7ELi8ELi9ELi10EEEElEEEEES33_NS_31BlockToCTileMap_M00_N00_M01_N01ILi128ELi128ES1V_Lb0EEENS1_30ComputePtrOffsetOfStridedBatchILi1ELi1ELi1EvEELb0ELb1EEEvPKT0_S3B_T1_PT2_T3_T4_T5_iT6_T7_T8_T9_T10_T11_.has_recursion, 0
	.set _ZN2ck16tensor_operation6device12_GLOBAL__N_137kernel_grouped_conv_fwd_dl_multiple_dINS_32GridwiseGemmDlMultipleD_km_kn_mnILi256EDF16_fNS_5TupleIJDF16_EEEDF16_NS0_12element_wise11PassThroughES8_NS7_7AddReluELNS_25InMemoryDataOperationEnumE0ENS_16TensorDescriptorINS5_IJNS_5EmbedINS5_IJiiiiEEESD_Lb0EEENS_11PassThroughIiEENS_3PadIiiiLb0EEESI_SG_SG_NSC_INS5_IJiiEEESJ_Lb0EEESK_SG_NS_23Merge_v2_magic_divisionINS5_IJiiiEEEEESN_NS_8RightPadIiiLb0EEESP_NS_7UnMergeISJ_Lb0EEESG_EEENS5_IJNS_8SequenceIJLi0EEEENST_IJLi1EEEENST_IJLi2EEEENST_IJLi3EEEENST_IJLi4EEEENST_IJLi5EEEENST_IJLi6EEEENST_IJLi7EEEENST_IJLi8EEEENST_IJLi9ELi11ELi13EEEENST_IJLi10ELi12ELi14EEEENST_IJLi15EEEENST_IJLi16EEEENST_IJLi18EEEENST_IJLi17EEEEEEENS5_IJNST_IJLi1ELi2ELi3ELi4EEEESZ_S10_S11_S12_NST_IJLi9EEEENST_IJLi10ELi11EEEENST_IJLi12ELi13EEEENST_IJLi14EEEES15_S16_S18_S17_NST_IJLi19ELi20EEEENST_IJLi21EEEEEEENST_IJLi19ELi21ELi20EEEElEENSB_INS5_IJSR_SP_SP_SR_SG_EEENS5_IJSU_SV_SW_SY_SX_EEENS5_IJNST_IJLi1ELi2EEEESX_SY_NST_IJLi5ELi6EEEES11_EEENST_IJLi5ELi7ELi6EEEElEENSB_INS5_IJSK_SP_SP_EEENS5_IJSU_SV_SW_EEENS5_IJS1M_SX_SY_EEENST_IJLi3ELi4EEEElEELi128ELi128ELi16ELi2ELi4ELi4ELi1ENST_IJLi8ELi2EEEES1W_NST_IJLi8ELi1ELi1ELi2EEEENST_IJLi2ELi1ELi128ELi1EEEENST_IJLi1ELi2ELi0ELi3EEEES1Z_NST_IJLi4ELi1ELi1ELi2EEEES1Z_NST_IJLi1ELi1ELi1ELi2EEEES1X_S1Y_S1Z_S1Z_S20_S1Z_S21_NST_IJLi0ELi1ELi2ELi3ELi4ELi5EEEELi5ELi4EEEDF16_NS5_IJPKDF16_EEEDF16_S8_S8_S9_NSB_INS5_IJSE_SG_SI_SI_SG_SG_SK_SK_SG_SN_SN_SP_SP_SR_SG_SG_NSQ_INS5_IJiNS_17integral_constantIiLi128EEEEEELb0EEENSF_INS27_IiLi2EEEEEEEENS5_IJSU_SV_SW_SX_SY_SZ_S10_S11_S12_S13_S14_S15_S16_S17_S18_NST_IJLi19EEEES1G_NST_IJLi20EEEEEEENS5_IJS1A_SZ_S10_S11_S12_S1B_S1C_S1D_S1E_S15_S16_S18_S17_S1F_S1G_NST_IJLi22EEEENST_IJLi23ELi24EEEENST_IJLi25EEEEEEENST_IJLi22ELi23ELi24ELi25EEEElEENSB_INS5_IJSR_SP_SP_SR_SG_SG_S2A_S2C_EEENS5_IJSU_SV_SW_SY_SX_SZ_S11_S10_EEENS5_IJS1M_SX_SY_S1N_S11_S12_NST_IJLi9ELi10EEEENST_IJLi11EEEEEEENST_IJLi8ELi9ELi10ELi11EEEElEENS5_IJNSB_INS5_IJSK_SP_SP_NSQ_INS5_IJiS2B_NS27_IiLi64EEEEEELb0EEES2W_EEENS5_IJSU_SV_SW_SX_SY_EEENS5_IJS1M_SX_SY_NST_IJLi5ELi6ELi7EEEENST_IJLi8ELi9ELi10EEEEEEENST_IJLi5ELi6ELi7ELi8ELi9ELi10EEEElEEEEES33_NS_31BlockToCTileMap_M00_N00_M01_N01ILi128ELi128ES1V_Lb0EEENS1_30ComputePtrOffsetOfStridedBatchILi1ELi1ELi1EvEELb0ELb1EEEvPKT0_S3B_T1_PT2_T3_T4_T5_iT6_T7_T8_T9_T10_T11_.has_indirect_call, 0
	.section	.AMDGPU.csdata,"",@progbits
; Kernel info:
; codeLenInByte = 15164
; TotalNumSgprs: 64
; NumVgprs: 121
; ScratchSize: 0
; MemoryBound: 0
; FloatMode: 240
; IeeeMode: 1
; LDSByteSize: 32768 bytes/workgroup (compile time only)
; SGPRBlocks: 0
; VGPRBlocks: 15
; NumSGPRsForWavesPerEU: 64
; NumVGPRsForWavesPerEU: 121
; Occupancy: 8
; WaveLimiterHint : 0
; COMPUTE_PGM_RSRC2:SCRATCH_EN: 0
; COMPUTE_PGM_RSRC2:USER_SGPR: 6
; COMPUTE_PGM_RSRC2:TRAP_HANDLER: 0
; COMPUTE_PGM_RSRC2:TGID_X_EN: 1
; COMPUTE_PGM_RSRC2:TGID_Y_EN: 0
; COMPUTE_PGM_RSRC2:TGID_Z_EN: 0
; COMPUTE_PGM_RSRC2:TIDIG_COMP_CNT: 0
	.section	.text._ZN2ck16tensor_operation6device12_GLOBAL__N_137kernel_grouped_conv_fwd_dl_multiple_dINS_32GridwiseGemmDlMultipleD_km_kn_mnILi256EDF16_fNS_5TupleIJDF16_EEEDF16_NS0_12element_wise11PassThroughES8_NS7_7AddReluELNS_25InMemoryDataOperationEnumE0ENS_16TensorDescriptorINS5_IJNS_5EmbedINS5_IJiiiiEEESD_Lb0EEENS_11PassThroughIiEENS_3PadIiiiLb0EEESI_SG_SG_NSC_INS5_IJiiEEESJ_Lb0EEESK_SG_NS_23Merge_v2_magic_divisionINS5_IJiiiEEEEESN_NS_8RightPadIiiLb0EEESP_NS_7UnMergeISJ_Lb0EEESG_EEENS5_IJNS_8SequenceIJLi0EEEENST_IJLi1EEEENST_IJLi2EEEENST_IJLi3EEEENST_IJLi4EEEENST_IJLi5EEEENST_IJLi6EEEENST_IJLi7EEEENST_IJLi8EEEENST_IJLi9ELi11ELi13EEEENST_IJLi10ELi12ELi14EEEENST_IJLi15EEEENST_IJLi16EEEENST_IJLi18EEEENST_IJLi17EEEEEEENS5_IJNST_IJLi1ELi2ELi3ELi4EEEESZ_S10_S11_S12_NST_IJLi9EEEENST_IJLi10ELi11EEEENST_IJLi12ELi13EEEENST_IJLi14EEEES15_S16_S18_S17_NST_IJLi19ELi20EEEENST_IJLi21EEEEEEENST_IJLi19ELi21ELi20EEEElEENSB_INS5_IJSR_SP_SP_SR_SG_EEENS5_IJSU_SV_SW_SY_SX_EEENS5_IJNST_IJLi1ELi2EEEESX_SY_NST_IJLi5ELi6EEEES11_EEENST_IJLi5ELi7ELi6EEEElEENSB_INS5_IJSK_SP_SP_EEENS5_IJSU_SV_SW_EEENS5_IJS1M_SX_SY_EEENST_IJLi3ELi4EEEElEELi128ELi128ELi16ELi2ELi4ELi4ELi1ENST_IJLi8ELi2EEEES1W_NST_IJLi8ELi1ELi1ELi2EEEENST_IJLi2ELi1ELi128ELi1EEEENST_IJLi1ELi2ELi0ELi3EEEES1Z_NST_IJLi4ELi1ELi1ELi2EEEES1Z_NST_IJLi1ELi1ELi1ELi2EEEES1X_S1Y_S1Z_S1Z_S20_S1Z_S21_NST_IJLi0ELi1ELi2ELi3ELi4ELi5EEEELi5ELi4EEEDF16_NS5_IJPKDF16_EEEDF16_S8_S8_S9_NSB_INS5_IJSE_SG_SI_SI_SG_SG_SK_SK_SG_SN_SN_SP_SP_SR_SG_SG_NSQ_INS5_IJiNS_17integral_constantIiLi128EEEEEELb0EEENSF_INS27_IiLi2EEEEEEEENS5_IJSU_SV_SW_SX_SY_SZ_S10_S11_S12_S13_S14_S15_S16_S17_S18_NST_IJLi19EEEES1G_NST_IJLi20EEEEEEENS5_IJS1A_SZ_S10_S11_S12_S1B_S1C_S1D_S1E_S15_S16_S18_S17_S1F_S1G_NST_IJLi22EEEENST_IJLi23ELi24EEEENST_IJLi25EEEEEEENST_IJLi22ELi23ELi24ELi25EEEElEENSB_INS5_IJSR_SP_SP_SR_SG_SG_S2A_S2C_EEENS5_IJSU_SV_SW_SY_SX_SZ_S11_S10_EEENS5_IJS1M_SX_SY_S1N_S11_S12_NST_IJLi9ELi10EEEENST_IJLi11EEEEEEENST_IJLi8ELi9ELi10ELi11EEEElEENS5_IJNSB_INS5_IJSK_SP_SP_NSQ_INS5_IJiS2B_NS27_IiLi64EEEEEELb0EEES2W_EEENS5_IJSU_SV_SW_SX_SY_EEENS5_IJS1M_SX_SY_NST_IJLi5ELi6ELi7EEEENST_IJLi8ELi9ELi10EEEEEEENST_IJLi5ELi6ELi7ELi8ELi9ELi10EEEElEEEEES33_NS_31BlockToCTileMap_M00_N00_M01_N01ILi128ELi128ES1V_Lb0EEENS1_30ComputePtrOffsetOfStridedBatchILi1ELi1ELi1EvEELb0ELb0EEEvPKT0_S3B_T1_PT2_T3_T4_T5_iT6_T7_T8_T9_T10_T11_,"axG",@progbits,_ZN2ck16tensor_operation6device12_GLOBAL__N_137kernel_grouped_conv_fwd_dl_multiple_dINS_32GridwiseGemmDlMultipleD_km_kn_mnILi256EDF16_fNS_5TupleIJDF16_EEEDF16_NS0_12element_wise11PassThroughES8_NS7_7AddReluELNS_25InMemoryDataOperationEnumE0ENS_16TensorDescriptorINS5_IJNS_5EmbedINS5_IJiiiiEEESD_Lb0EEENS_11PassThroughIiEENS_3PadIiiiLb0EEESI_SG_SG_NSC_INS5_IJiiEEESJ_Lb0EEESK_SG_NS_23Merge_v2_magic_divisionINS5_IJiiiEEEEESN_NS_8RightPadIiiLb0EEESP_NS_7UnMergeISJ_Lb0EEESG_EEENS5_IJNS_8SequenceIJLi0EEEENST_IJLi1EEEENST_IJLi2EEEENST_IJLi3EEEENST_IJLi4EEEENST_IJLi5EEEENST_IJLi6EEEENST_IJLi7EEEENST_IJLi8EEEENST_IJLi9ELi11ELi13EEEENST_IJLi10ELi12ELi14EEEENST_IJLi15EEEENST_IJLi16EEEENST_IJLi18EEEENST_IJLi17EEEEEEENS5_IJNST_IJLi1ELi2ELi3ELi4EEEESZ_S10_S11_S12_NST_IJLi9EEEENST_IJLi10ELi11EEEENST_IJLi12ELi13EEEENST_IJLi14EEEES15_S16_S18_S17_NST_IJLi19ELi20EEEENST_IJLi21EEEEEEENST_IJLi19ELi21ELi20EEEElEENSB_INS5_IJSR_SP_SP_SR_SG_EEENS5_IJSU_SV_SW_SY_SX_EEENS5_IJNST_IJLi1ELi2EEEESX_SY_NST_IJLi5ELi6EEEES11_EEENST_IJLi5ELi7ELi6EEEElEENSB_INS5_IJSK_SP_SP_EEENS5_IJSU_SV_SW_EEENS5_IJS1M_SX_SY_EEENST_IJLi3ELi4EEEElEELi128ELi128ELi16ELi2ELi4ELi4ELi1ENST_IJLi8ELi2EEEES1W_NST_IJLi8ELi1ELi1ELi2EEEENST_IJLi2ELi1ELi128ELi1EEEENST_IJLi1ELi2ELi0ELi3EEEES1Z_NST_IJLi4ELi1ELi1ELi2EEEES1Z_NST_IJLi1ELi1ELi1ELi2EEEES1X_S1Y_S1Z_S1Z_S20_S1Z_S21_NST_IJLi0ELi1ELi2ELi3ELi4ELi5EEEELi5ELi4EEEDF16_NS5_IJPKDF16_EEEDF16_S8_S8_S9_NSB_INS5_IJSE_SG_SI_SI_SG_SG_SK_SK_SG_SN_SN_SP_SP_SR_SG_SG_NSQ_INS5_IJiNS_17integral_constantIiLi128EEEEEELb0EEENSF_INS27_IiLi2EEEEEEEENS5_IJSU_SV_SW_SX_SY_SZ_S10_S11_S12_S13_S14_S15_S16_S17_S18_NST_IJLi19EEEES1G_NST_IJLi20EEEEEEENS5_IJS1A_SZ_S10_S11_S12_S1B_S1C_S1D_S1E_S15_S16_S18_S17_S1F_S1G_NST_IJLi22EEEENST_IJLi23ELi24EEEENST_IJLi25EEEEEEENST_IJLi22ELi23ELi24ELi25EEEElEENSB_INS5_IJSR_SP_SP_SR_SG_SG_S2A_S2C_EEENS5_IJSU_SV_SW_SY_SX_SZ_S11_S10_EEENS5_IJS1M_SX_SY_S1N_S11_S12_NST_IJLi9ELi10EEEENST_IJLi11EEEEEEENST_IJLi8ELi9ELi10ELi11EEEElEENS5_IJNSB_INS5_IJSK_SP_SP_NSQ_INS5_IJiS2B_NS27_IiLi64EEEEEELb0EEES2W_EEENS5_IJSU_SV_SW_SX_SY_EEENS5_IJS1M_SX_SY_NST_IJLi5ELi6ELi7EEEENST_IJLi8ELi9ELi10EEEEEEENST_IJLi5ELi6ELi7ELi8ELi9ELi10EEEElEEEEES33_NS_31BlockToCTileMap_M00_N00_M01_N01ILi128ELi128ES1V_Lb0EEENS1_30ComputePtrOffsetOfStridedBatchILi1ELi1ELi1EvEELb0ELb0EEEvPKT0_S3B_T1_PT2_T3_T4_T5_iT6_T7_T8_T9_T10_T11_,comdat
	.globl	_ZN2ck16tensor_operation6device12_GLOBAL__N_137kernel_grouped_conv_fwd_dl_multiple_dINS_32GridwiseGemmDlMultipleD_km_kn_mnILi256EDF16_fNS_5TupleIJDF16_EEEDF16_NS0_12element_wise11PassThroughES8_NS7_7AddReluELNS_25InMemoryDataOperationEnumE0ENS_16TensorDescriptorINS5_IJNS_5EmbedINS5_IJiiiiEEESD_Lb0EEENS_11PassThroughIiEENS_3PadIiiiLb0EEESI_SG_SG_NSC_INS5_IJiiEEESJ_Lb0EEESK_SG_NS_23Merge_v2_magic_divisionINS5_IJiiiEEEEESN_NS_8RightPadIiiLb0EEESP_NS_7UnMergeISJ_Lb0EEESG_EEENS5_IJNS_8SequenceIJLi0EEEENST_IJLi1EEEENST_IJLi2EEEENST_IJLi3EEEENST_IJLi4EEEENST_IJLi5EEEENST_IJLi6EEEENST_IJLi7EEEENST_IJLi8EEEENST_IJLi9ELi11ELi13EEEENST_IJLi10ELi12ELi14EEEENST_IJLi15EEEENST_IJLi16EEEENST_IJLi18EEEENST_IJLi17EEEEEEENS5_IJNST_IJLi1ELi2ELi3ELi4EEEESZ_S10_S11_S12_NST_IJLi9EEEENST_IJLi10ELi11EEEENST_IJLi12ELi13EEEENST_IJLi14EEEES15_S16_S18_S17_NST_IJLi19ELi20EEEENST_IJLi21EEEEEEENST_IJLi19ELi21ELi20EEEElEENSB_INS5_IJSR_SP_SP_SR_SG_EEENS5_IJSU_SV_SW_SY_SX_EEENS5_IJNST_IJLi1ELi2EEEESX_SY_NST_IJLi5ELi6EEEES11_EEENST_IJLi5ELi7ELi6EEEElEENSB_INS5_IJSK_SP_SP_EEENS5_IJSU_SV_SW_EEENS5_IJS1M_SX_SY_EEENST_IJLi3ELi4EEEElEELi128ELi128ELi16ELi2ELi4ELi4ELi1ENST_IJLi8ELi2EEEES1W_NST_IJLi8ELi1ELi1ELi2EEEENST_IJLi2ELi1ELi128ELi1EEEENST_IJLi1ELi2ELi0ELi3EEEES1Z_NST_IJLi4ELi1ELi1ELi2EEEES1Z_NST_IJLi1ELi1ELi1ELi2EEEES1X_S1Y_S1Z_S1Z_S20_S1Z_S21_NST_IJLi0ELi1ELi2ELi3ELi4ELi5EEEELi5ELi4EEEDF16_NS5_IJPKDF16_EEEDF16_S8_S8_S9_NSB_INS5_IJSE_SG_SI_SI_SG_SG_SK_SK_SG_SN_SN_SP_SP_SR_SG_SG_NSQ_INS5_IJiNS_17integral_constantIiLi128EEEEEELb0EEENSF_INS27_IiLi2EEEEEEEENS5_IJSU_SV_SW_SX_SY_SZ_S10_S11_S12_S13_S14_S15_S16_S17_S18_NST_IJLi19EEEES1G_NST_IJLi20EEEEEEENS5_IJS1A_SZ_S10_S11_S12_S1B_S1C_S1D_S1E_S15_S16_S18_S17_S1F_S1G_NST_IJLi22EEEENST_IJLi23ELi24EEEENST_IJLi25EEEEEEENST_IJLi22ELi23ELi24ELi25EEEElEENSB_INS5_IJSR_SP_SP_SR_SG_SG_S2A_S2C_EEENS5_IJSU_SV_SW_SY_SX_SZ_S11_S10_EEENS5_IJS1M_SX_SY_S1N_S11_S12_NST_IJLi9ELi10EEEENST_IJLi11EEEEEEENST_IJLi8ELi9ELi10ELi11EEEElEENS5_IJNSB_INS5_IJSK_SP_SP_NSQ_INS5_IJiS2B_NS27_IiLi64EEEEEELb0EEES2W_EEENS5_IJSU_SV_SW_SX_SY_EEENS5_IJS1M_SX_SY_NST_IJLi5ELi6ELi7EEEENST_IJLi8ELi9ELi10EEEEEEENST_IJLi5ELi6ELi7ELi8ELi9ELi10EEEElEEEEES33_NS_31BlockToCTileMap_M00_N00_M01_N01ILi128ELi128ES1V_Lb0EEENS1_30ComputePtrOffsetOfStridedBatchILi1ELi1ELi1EvEELb0ELb0EEEvPKT0_S3B_T1_PT2_T3_T4_T5_iT6_T7_T8_T9_T10_T11_ ; -- Begin function _ZN2ck16tensor_operation6device12_GLOBAL__N_137kernel_grouped_conv_fwd_dl_multiple_dINS_32GridwiseGemmDlMultipleD_km_kn_mnILi256EDF16_fNS_5TupleIJDF16_EEEDF16_NS0_12element_wise11PassThroughES8_NS7_7AddReluELNS_25InMemoryDataOperationEnumE0ENS_16TensorDescriptorINS5_IJNS_5EmbedINS5_IJiiiiEEESD_Lb0EEENS_11PassThroughIiEENS_3PadIiiiLb0EEESI_SG_SG_NSC_INS5_IJiiEEESJ_Lb0EEESK_SG_NS_23Merge_v2_magic_divisionINS5_IJiiiEEEEESN_NS_8RightPadIiiLb0EEESP_NS_7UnMergeISJ_Lb0EEESG_EEENS5_IJNS_8SequenceIJLi0EEEENST_IJLi1EEEENST_IJLi2EEEENST_IJLi3EEEENST_IJLi4EEEENST_IJLi5EEEENST_IJLi6EEEENST_IJLi7EEEENST_IJLi8EEEENST_IJLi9ELi11ELi13EEEENST_IJLi10ELi12ELi14EEEENST_IJLi15EEEENST_IJLi16EEEENST_IJLi18EEEENST_IJLi17EEEEEEENS5_IJNST_IJLi1ELi2ELi3ELi4EEEESZ_S10_S11_S12_NST_IJLi9EEEENST_IJLi10ELi11EEEENST_IJLi12ELi13EEEENST_IJLi14EEEES15_S16_S18_S17_NST_IJLi19ELi20EEEENST_IJLi21EEEEEEENST_IJLi19ELi21ELi20EEEElEENSB_INS5_IJSR_SP_SP_SR_SG_EEENS5_IJSU_SV_SW_SY_SX_EEENS5_IJNST_IJLi1ELi2EEEESX_SY_NST_IJLi5ELi6EEEES11_EEENST_IJLi5ELi7ELi6EEEElEENSB_INS5_IJSK_SP_SP_EEENS5_IJSU_SV_SW_EEENS5_IJS1M_SX_SY_EEENST_IJLi3ELi4EEEElEELi128ELi128ELi16ELi2ELi4ELi4ELi1ENST_IJLi8ELi2EEEES1W_NST_IJLi8ELi1ELi1ELi2EEEENST_IJLi2ELi1ELi128ELi1EEEENST_IJLi1ELi2ELi0ELi3EEEES1Z_NST_IJLi4ELi1ELi1ELi2EEEES1Z_NST_IJLi1ELi1ELi1ELi2EEEES1X_S1Y_S1Z_S1Z_S20_S1Z_S21_NST_IJLi0ELi1ELi2ELi3ELi4ELi5EEEELi5ELi4EEEDF16_NS5_IJPKDF16_EEEDF16_S8_S8_S9_NSB_INS5_IJSE_SG_SI_SI_SG_SG_SK_SK_SG_SN_SN_SP_SP_SR_SG_SG_NSQ_INS5_IJiNS_17integral_constantIiLi128EEEEEELb0EEENSF_INS27_IiLi2EEEEEEEENS5_IJSU_SV_SW_SX_SY_SZ_S10_S11_S12_S13_S14_S15_S16_S17_S18_NST_IJLi19EEEES1G_NST_IJLi20EEEEEEENS5_IJS1A_SZ_S10_S11_S12_S1B_S1C_S1D_S1E_S15_S16_S18_S17_S1F_S1G_NST_IJLi22EEEENST_IJLi23ELi24EEEENST_IJLi25EEEEEEENST_IJLi22ELi23ELi24ELi25EEEElEENSB_INS5_IJSR_SP_SP_SR_SG_SG_S2A_S2C_EEENS5_IJSU_SV_SW_SY_SX_SZ_S11_S10_EEENS5_IJS1M_SX_SY_S1N_S11_S12_NST_IJLi9ELi10EEEENST_IJLi11EEEEEEENST_IJLi8ELi9ELi10ELi11EEEElEENS5_IJNSB_INS5_IJSK_SP_SP_NSQ_INS5_IJiS2B_NS27_IiLi64EEEEEELb0EEES2W_EEENS5_IJSU_SV_SW_SX_SY_EEENS5_IJS1M_SX_SY_NST_IJLi5ELi6ELi7EEEENST_IJLi8ELi9ELi10EEEEEEENST_IJLi5ELi6ELi7ELi8ELi9ELi10EEEElEEEEES33_NS_31BlockToCTileMap_M00_N00_M01_N01ILi128ELi128ES1V_Lb0EEENS1_30ComputePtrOffsetOfStridedBatchILi1ELi1ELi1EvEELb0ELb0EEEvPKT0_S3B_T1_PT2_T3_T4_T5_iT6_T7_T8_T9_T10_T11_
	.p2align	8
	.type	_ZN2ck16tensor_operation6device12_GLOBAL__N_137kernel_grouped_conv_fwd_dl_multiple_dINS_32GridwiseGemmDlMultipleD_km_kn_mnILi256EDF16_fNS_5TupleIJDF16_EEEDF16_NS0_12element_wise11PassThroughES8_NS7_7AddReluELNS_25InMemoryDataOperationEnumE0ENS_16TensorDescriptorINS5_IJNS_5EmbedINS5_IJiiiiEEESD_Lb0EEENS_11PassThroughIiEENS_3PadIiiiLb0EEESI_SG_SG_NSC_INS5_IJiiEEESJ_Lb0EEESK_SG_NS_23Merge_v2_magic_divisionINS5_IJiiiEEEEESN_NS_8RightPadIiiLb0EEESP_NS_7UnMergeISJ_Lb0EEESG_EEENS5_IJNS_8SequenceIJLi0EEEENST_IJLi1EEEENST_IJLi2EEEENST_IJLi3EEEENST_IJLi4EEEENST_IJLi5EEEENST_IJLi6EEEENST_IJLi7EEEENST_IJLi8EEEENST_IJLi9ELi11ELi13EEEENST_IJLi10ELi12ELi14EEEENST_IJLi15EEEENST_IJLi16EEEENST_IJLi18EEEENST_IJLi17EEEEEEENS5_IJNST_IJLi1ELi2ELi3ELi4EEEESZ_S10_S11_S12_NST_IJLi9EEEENST_IJLi10ELi11EEEENST_IJLi12ELi13EEEENST_IJLi14EEEES15_S16_S18_S17_NST_IJLi19ELi20EEEENST_IJLi21EEEEEEENST_IJLi19ELi21ELi20EEEElEENSB_INS5_IJSR_SP_SP_SR_SG_EEENS5_IJSU_SV_SW_SY_SX_EEENS5_IJNST_IJLi1ELi2EEEESX_SY_NST_IJLi5ELi6EEEES11_EEENST_IJLi5ELi7ELi6EEEElEENSB_INS5_IJSK_SP_SP_EEENS5_IJSU_SV_SW_EEENS5_IJS1M_SX_SY_EEENST_IJLi3ELi4EEEElEELi128ELi128ELi16ELi2ELi4ELi4ELi1ENST_IJLi8ELi2EEEES1W_NST_IJLi8ELi1ELi1ELi2EEEENST_IJLi2ELi1ELi128ELi1EEEENST_IJLi1ELi2ELi0ELi3EEEES1Z_NST_IJLi4ELi1ELi1ELi2EEEES1Z_NST_IJLi1ELi1ELi1ELi2EEEES1X_S1Y_S1Z_S1Z_S20_S1Z_S21_NST_IJLi0ELi1ELi2ELi3ELi4ELi5EEEELi5ELi4EEEDF16_NS5_IJPKDF16_EEEDF16_S8_S8_S9_NSB_INS5_IJSE_SG_SI_SI_SG_SG_SK_SK_SG_SN_SN_SP_SP_SR_SG_SG_NSQ_INS5_IJiNS_17integral_constantIiLi128EEEEEELb0EEENSF_INS27_IiLi2EEEEEEEENS5_IJSU_SV_SW_SX_SY_SZ_S10_S11_S12_S13_S14_S15_S16_S17_S18_NST_IJLi19EEEES1G_NST_IJLi20EEEEEEENS5_IJS1A_SZ_S10_S11_S12_S1B_S1C_S1D_S1E_S15_S16_S18_S17_S1F_S1G_NST_IJLi22EEEENST_IJLi23ELi24EEEENST_IJLi25EEEEEEENST_IJLi22ELi23ELi24ELi25EEEElEENSB_INS5_IJSR_SP_SP_SR_SG_SG_S2A_S2C_EEENS5_IJSU_SV_SW_SY_SX_SZ_S11_S10_EEENS5_IJS1M_SX_SY_S1N_S11_S12_NST_IJLi9ELi10EEEENST_IJLi11EEEEEEENST_IJLi8ELi9ELi10ELi11EEEElEENS5_IJNSB_INS5_IJSK_SP_SP_NSQ_INS5_IJiS2B_NS27_IiLi64EEEEEELb0EEES2W_EEENS5_IJSU_SV_SW_SX_SY_EEENS5_IJS1M_SX_SY_NST_IJLi5ELi6ELi7EEEENST_IJLi8ELi9ELi10EEEEEEENST_IJLi5ELi6ELi7ELi8ELi9ELi10EEEElEEEEES33_NS_31BlockToCTileMap_M00_N00_M01_N01ILi128ELi128ES1V_Lb0EEENS1_30ComputePtrOffsetOfStridedBatchILi1ELi1ELi1EvEELb0ELb0EEEvPKT0_S3B_T1_PT2_T3_T4_T5_iT6_T7_T8_T9_T10_T11_,@function
_ZN2ck16tensor_operation6device12_GLOBAL__N_137kernel_grouped_conv_fwd_dl_multiple_dINS_32GridwiseGemmDlMultipleD_km_kn_mnILi256EDF16_fNS_5TupleIJDF16_EEEDF16_NS0_12element_wise11PassThroughES8_NS7_7AddReluELNS_25InMemoryDataOperationEnumE0ENS_16TensorDescriptorINS5_IJNS_5EmbedINS5_IJiiiiEEESD_Lb0EEENS_11PassThroughIiEENS_3PadIiiiLb0EEESI_SG_SG_NSC_INS5_IJiiEEESJ_Lb0EEESK_SG_NS_23Merge_v2_magic_divisionINS5_IJiiiEEEEESN_NS_8RightPadIiiLb0EEESP_NS_7UnMergeISJ_Lb0EEESG_EEENS5_IJNS_8SequenceIJLi0EEEENST_IJLi1EEEENST_IJLi2EEEENST_IJLi3EEEENST_IJLi4EEEENST_IJLi5EEEENST_IJLi6EEEENST_IJLi7EEEENST_IJLi8EEEENST_IJLi9ELi11ELi13EEEENST_IJLi10ELi12ELi14EEEENST_IJLi15EEEENST_IJLi16EEEENST_IJLi18EEEENST_IJLi17EEEEEEENS5_IJNST_IJLi1ELi2ELi3ELi4EEEESZ_S10_S11_S12_NST_IJLi9EEEENST_IJLi10ELi11EEEENST_IJLi12ELi13EEEENST_IJLi14EEEES15_S16_S18_S17_NST_IJLi19ELi20EEEENST_IJLi21EEEEEEENST_IJLi19ELi21ELi20EEEElEENSB_INS5_IJSR_SP_SP_SR_SG_EEENS5_IJSU_SV_SW_SY_SX_EEENS5_IJNST_IJLi1ELi2EEEESX_SY_NST_IJLi5ELi6EEEES11_EEENST_IJLi5ELi7ELi6EEEElEENSB_INS5_IJSK_SP_SP_EEENS5_IJSU_SV_SW_EEENS5_IJS1M_SX_SY_EEENST_IJLi3ELi4EEEElEELi128ELi128ELi16ELi2ELi4ELi4ELi1ENST_IJLi8ELi2EEEES1W_NST_IJLi8ELi1ELi1ELi2EEEENST_IJLi2ELi1ELi128ELi1EEEENST_IJLi1ELi2ELi0ELi3EEEES1Z_NST_IJLi4ELi1ELi1ELi2EEEES1Z_NST_IJLi1ELi1ELi1ELi2EEEES1X_S1Y_S1Z_S1Z_S20_S1Z_S21_NST_IJLi0ELi1ELi2ELi3ELi4ELi5EEEELi5ELi4EEEDF16_NS5_IJPKDF16_EEEDF16_S8_S8_S9_NSB_INS5_IJSE_SG_SI_SI_SG_SG_SK_SK_SG_SN_SN_SP_SP_SR_SG_SG_NSQ_INS5_IJiNS_17integral_constantIiLi128EEEEEELb0EEENSF_INS27_IiLi2EEEEEEEENS5_IJSU_SV_SW_SX_SY_SZ_S10_S11_S12_S13_S14_S15_S16_S17_S18_NST_IJLi19EEEES1G_NST_IJLi20EEEEEEENS5_IJS1A_SZ_S10_S11_S12_S1B_S1C_S1D_S1E_S15_S16_S18_S17_S1F_S1G_NST_IJLi22EEEENST_IJLi23ELi24EEEENST_IJLi25EEEEEEENST_IJLi22ELi23ELi24ELi25EEEElEENSB_INS5_IJSR_SP_SP_SR_SG_SG_S2A_S2C_EEENS5_IJSU_SV_SW_SY_SX_SZ_S11_S10_EEENS5_IJS1M_SX_SY_S1N_S11_S12_NST_IJLi9ELi10EEEENST_IJLi11EEEEEEENST_IJLi8ELi9ELi10ELi11EEEElEENS5_IJNSB_INS5_IJSK_SP_SP_NSQ_INS5_IJiS2B_NS27_IiLi64EEEEEELb0EEES2W_EEENS5_IJSU_SV_SW_SX_SY_EEENS5_IJS1M_SX_SY_NST_IJLi5ELi6ELi7EEEENST_IJLi8ELi9ELi10EEEEEEENST_IJLi5ELi6ELi7ELi8ELi9ELi10EEEElEEEEES33_NS_31BlockToCTileMap_M00_N00_M01_N01ILi128ELi128ES1V_Lb0EEENS1_30ComputePtrOffsetOfStridedBatchILi1ELi1ELi1EvEELb0ELb0EEEvPKT0_S3B_T1_PT2_T3_T4_T5_iT6_T7_T8_T9_T10_T11_: ; @_ZN2ck16tensor_operation6device12_GLOBAL__N_137kernel_grouped_conv_fwd_dl_multiple_dINS_32GridwiseGemmDlMultipleD_km_kn_mnILi256EDF16_fNS_5TupleIJDF16_EEEDF16_NS0_12element_wise11PassThroughES8_NS7_7AddReluELNS_25InMemoryDataOperationEnumE0ENS_16TensorDescriptorINS5_IJNS_5EmbedINS5_IJiiiiEEESD_Lb0EEENS_11PassThroughIiEENS_3PadIiiiLb0EEESI_SG_SG_NSC_INS5_IJiiEEESJ_Lb0EEESK_SG_NS_23Merge_v2_magic_divisionINS5_IJiiiEEEEESN_NS_8RightPadIiiLb0EEESP_NS_7UnMergeISJ_Lb0EEESG_EEENS5_IJNS_8SequenceIJLi0EEEENST_IJLi1EEEENST_IJLi2EEEENST_IJLi3EEEENST_IJLi4EEEENST_IJLi5EEEENST_IJLi6EEEENST_IJLi7EEEENST_IJLi8EEEENST_IJLi9ELi11ELi13EEEENST_IJLi10ELi12ELi14EEEENST_IJLi15EEEENST_IJLi16EEEENST_IJLi18EEEENST_IJLi17EEEEEEENS5_IJNST_IJLi1ELi2ELi3ELi4EEEESZ_S10_S11_S12_NST_IJLi9EEEENST_IJLi10ELi11EEEENST_IJLi12ELi13EEEENST_IJLi14EEEES15_S16_S18_S17_NST_IJLi19ELi20EEEENST_IJLi21EEEEEEENST_IJLi19ELi21ELi20EEEElEENSB_INS5_IJSR_SP_SP_SR_SG_EEENS5_IJSU_SV_SW_SY_SX_EEENS5_IJNST_IJLi1ELi2EEEESX_SY_NST_IJLi5ELi6EEEES11_EEENST_IJLi5ELi7ELi6EEEElEENSB_INS5_IJSK_SP_SP_EEENS5_IJSU_SV_SW_EEENS5_IJS1M_SX_SY_EEENST_IJLi3ELi4EEEElEELi128ELi128ELi16ELi2ELi4ELi4ELi1ENST_IJLi8ELi2EEEES1W_NST_IJLi8ELi1ELi1ELi2EEEENST_IJLi2ELi1ELi128ELi1EEEENST_IJLi1ELi2ELi0ELi3EEEES1Z_NST_IJLi4ELi1ELi1ELi2EEEES1Z_NST_IJLi1ELi1ELi1ELi2EEEES1X_S1Y_S1Z_S1Z_S20_S1Z_S21_NST_IJLi0ELi1ELi2ELi3ELi4ELi5EEEELi5ELi4EEEDF16_NS5_IJPKDF16_EEEDF16_S8_S8_S9_NSB_INS5_IJSE_SG_SI_SI_SG_SG_SK_SK_SG_SN_SN_SP_SP_SR_SG_SG_NSQ_INS5_IJiNS_17integral_constantIiLi128EEEEEELb0EEENSF_INS27_IiLi2EEEEEEEENS5_IJSU_SV_SW_SX_SY_SZ_S10_S11_S12_S13_S14_S15_S16_S17_S18_NST_IJLi19EEEES1G_NST_IJLi20EEEEEEENS5_IJS1A_SZ_S10_S11_S12_S1B_S1C_S1D_S1E_S15_S16_S18_S17_S1F_S1G_NST_IJLi22EEEENST_IJLi23ELi24EEEENST_IJLi25EEEEEEENST_IJLi22ELi23ELi24ELi25EEEElEENSB_INS5_IJSR_SP_SP_SR_SG_SG_S2A_S2C_EEENS5_IJSU_SV_SW_SY_SX_SZ_S11_S10_EEENS5_IJS1M_SX_SY_S1N_S11_S12_NST_IJLi9ELi10EEEENST_IJLi11EEEEEEENST_IJLi8ELi9ELi10ELi11EEEElEENS5_IJNSB_INS5_IJSK_SP_SP_NSQ_INS5_IJiS2B_NS27_IiLi64EEEEEELb0EEES2W_EEENS5_IJSU_SV_SW_SX_SY_EEENS5_IJS1M_SX_SY_NST_IJLi5ELi6ELi7EEEENST_IJLi8ELi9ELi10EEEEEEENST_IJLi5ELi6ELi7ELi8ELi9ELi10EEEElEEEEES33_NS_31BlockToCTileMap_M00_N00_M01_N01ILi128ELi128ES1V_Lb0EEENS1_30ComputePtrOffsetOfStridedBatchILi1ELi1ELi1EvEELb0ELb0EEEvPKT0_S3B_T1_PT2_T3_T4_T5_iT6_T7_T8_T9_T10_T11_
; %bb.0:
	s_clause 0x3
	s_load_dword s7, s[4:5], 0x24
	s_load_dwordx4 s[0:3], s[4:5], 0x38
	s_load_dword s9, s[4:5], 0x2c8
	s_load_dwordx2 s[34:35], s[4:5], 0xc8
	v_lshrrev_b32_e32 v22, 1, v0
	v_lshrrev_b32_e32 v23, 5, v0
	v_lshlrev_b32_e32 v80, 1, v0
	v_mov_b32_e32 v65, 0
	v_mov_b32_e32 v66, 0
	v_lshlrev_b32_e32 v88, 2, v22
	v_lshlrev_b32_e32 v67, 6, v23
	v_and_b32_e32 v71, 0x1f8, v80
	v_lshlrev_b32_e32 v23, 3, v23
	v_mov_b32_e32 v46, 0
	v_mov_b32_e32 v47, 0
	;; [unrolled: 1-line block ×3, first 2 shown]
	v_sub_nc_u32_e32 v81, v71, v67
	v_and_or_b32 v83, v80, 4, v23
	v_mov_b32_e32 v62, 0
	v_mov_b32_e32 v40, 0
	s_waitcnt lgkmcnt(0)
	s_abs_i32 s8, s7
	v_mov_b32_e32 v41, 0
	v_cvt_f32_u32_e32 v1, s8
	s_sub_i32 s11, 0, s8
	s_abs_i32 s12, s9
	s_xor_b32 s7, s9, s7
	v_lshlrev_b32_e32 v80, 2, v83
	v_rcp_iflag_f32_e32 v1, v1
	s_ashr_i32 s7, s7, 31
	v_mov_b32_e32 v56, 0
	v_mov_b32_e32 v57, 0
	;; [unrolled: 1-line block ×8, first 2 shown]
	v_mul_f32_e32 v1, 0x4f7ffffe, v1
	v_mov_b32_e32 v75, 0
	v_mov_b32_e32 v72, 0
	;; [unrolled: 1-line block ×4, first 2 shown]
	v_cvt_u32_f32_e32 v1, v1
	v_mov_b32_e32 v73, 0
	v_mov_b32_e32 v69, 0
	v_mov_b32_e32 v42, 0
	v_mov_b32_e32 v43, 0
	v_readfirstlane_b32 s10, v1
	v_mov_b32_e32 v68, 0
	v_mov_b32_e32 v64, 0
	;; [unrolled: 1-line block ×4, first 2 shown]
	s_mul_i32 s11, s11, s10
	v_mov_b32_e32 v63, 0
	s_mul_hi_u32 s11, s10, s11
	v_mov_b32_e32 v58, 0
	s_add_i32 s10, s10, s11
	v_mov_b32_e32 v31, 0
	s_mul_hi_u32 s10, s12, s10
	v_mov_b32_e32 v32, 0
	s_mul_i32 s9, s10, s8
	s_add_i32 s11, s10, 1
	s_sub_i32 s9, s12, s9
	v_mov_b32_e32 v59, 0
	s_sub_i32 s12, s9, s8
	s_cmp_ge_u32 s9, s8
	v_mov_b32_e32 v60, 0
	s_cselect_b32 s10, s11, s10
	s_cselect_b32 s9, s12, s9
	s_add_i32 s11, s10, 1
	s_cmp_ge_u32 s9, s8
	v_mov_b32_e32 v17, 0
	s_cselect_b32 s8, s11, s10
	s_abs_i32 s25, s6
	s_xor_b32 s8, s8, s7
	v_mov_b32_e32 v54, 0
	s_sub_i32 s7, s8, s7
	s_load_dwordx8 s[8:15], s[4:5], 0x0
	s_abs_i32 s24, s7
	s_xor_b32 s7, s6, s7
	v_cvt_f32_u32_e32 v1, s24
	s_sub_i32 s17, 0, s24
	s_ashr_i32 s36, s7, 31
	s_clause 0x5
	s_load_dword s39, s[4:5], 0x100
	s_load_dword s44, s[4:5], 0x128
	;; [unrolled: 1-line block ×6, first 2 shown]
	v_mov_b32_e32 v55, 0
	v_rcp_iflag_f32_e32 v1, v1
	v_mov_b32_e32 v20, 0
	v_mov_b32_e32 v21, 0
	;; [unrolled: 1-line block ×9, first 2 shown]
	v_mul_f32_e32 v1, 0x4f7ffffe, v1
	v_mov_b32_e32 v30, 0
	v_mov_b32_e32 v24, 0
	;; [unrolled: 1-line block ×4, first 2 shown]
	v_cvt_u32_f32_e32 v1, v1
	v_mov_b32_e32 v18, 0
	v_mov_b32_e32 v19, 0
	v_mov_b32_e32 v71, 0
	v_mov_b32_e32 v67, 0
	v_readfirstlane_b32 s16, v1
	v_lshlrev_b32_e32 v1, 3, v0
	v_lshlrev_b32_e32 v0, 2, v0
	v_mov_b32_e32 v23, 0
	s_load_dword s58, s[4:5], 0x254
	s_mul_i32 s17, s17, s16
	v_and_b32_e32 v33, 8, v1
	s_mul_hi_u32 s17, s16, s17
	v_and_or_b32 v82, v0, 4, v81
	s_add_i32 s26, s16, s17
	s_load_dwordx8 s[16:23], s[4:5], 0x2a0
	s_mul_hi_u32 s26, s25, s26
	s_waitcnt lgkmcnt(0)
	v_mul_lo_u32 v34, s39, v33
	s_mul_i32 s27, s26, s24
	v_or_b32_e32 v1, 4, v33
	s_sub_i32 s25, s25, s27
	s_add_i32 s27, s26, 1
	s_sub_i32 s28, s25, s24
	s_cmp_ge_u32 s25, s24
	v_mul_lo_u32 v39, s39, v1
	s_cselect_b32 s26, s27, s26
	s_cselect_b32 s25, s28, s25
	s_add_i32 s27, s26, 1
	s_cmp_ge_u32 s25, s24
	s_clause 0x1
	s_load_dwordx4 s[28:31], s[4:5], 0x260
	s_load_dwordx4 s[40:43], s[4:5], 0x274
	s_cselect_b32 s24, s27, s26
	v_mul_lo_u32 v13, s37, v33
	s_xor_b32 s45, s24, s36
	s_load_dwordx4 s[24:27], s[4:5], 0x288
	s_sub_i32 s36, s45, s36
	v_lshl_or_b32 v0, v33, 9, v88
	s_ashr_i32 s45, s36, 31
	s_mul_hi_u32 s51, s20, s36
	s_mul_i32 s48, s20, s36
	s_mul_i32 s20, s20, s45
	s_mul_hi_u32 s47, s16, s36
	s_mul_i32 s46, s16, s36
	s_mul_hi_u32 s49, s18, s36
	s_mul_i32 s21, s21, s36
	s_mul_i32 s16, s16, s45
	;; [unrolled: 1-line block ×3, first 2 shown]
	s_add_i32 s20, s51, s20
	s_mul_hi_u32 s50, s22, s36
	s_mul_i32 s53, s22, s45
	s_mul_i32 s17, s17, s36
	s_add_i32 s16, s47, s16
	s_add_i32 s45, s49, s52
	;; [unrolled: 1-line block ×3, first 2 shown]
	s_mul_i32 s19, s19, s36
	s_mul_i32 s23, s23, s36
	s_add_i32 s50, s50, s53
	s_add_i32 s47, s16, s17
	s_lshl_b64 s[16:17], s[48:49], 1
	s_add_i32 s19, s45, s19
	s_add_i32 s21, s50, s23
	s_add_u32 s16, s12, s16
	s_addc_u32 s17, s13, s17
	s_lshl_b64 s[12:13], s[46:47], 1
	s_mul_i32 s18, s18, s36
	s_add_u32 s8, s8, s12
	s_addc_u32 s9, s9, s13
	s_lshl_b64 s[12:13], s[18:19], 1
	s_mul_i32 s20, s22, s36
	s_add_u32 s36, s10, s12
	s_addc_u32 s10, s11, s13
	s_lshl_b64 s[12:13], s[20:21], 1
	s_waitcnt lgkmcnt(0)
	s_mul_hi_u32 s11, s43, s6
	s_add_u32 s12, s14, s12
	s_addc_u32 s13, s15, s13
	s_add_i32 s11, s6, s11
	s_load_dword s14, s[4:5], 0x244
	s_lshr_b32 s45, s11, s27
	s_and_b32 s9, s9, 0xffff
	s_mul_hi_u32 s11, s45, s42
	s_clause 0x1
	s_load_dwordx2 s[42:43], s[4:5], 0xd4
	s_load_dwordx2 s[46:47], s[4:5], 0xa0
	s_add_i32 s11, s45, s11
	v_mul_hi_u32 v1, v34, s35
	s_lshr_b32 s56, s11, s26
	v_mul_hi_u32 v2, v39, s35
	s_mul_hi_u32 s11, s56, s41
	s_mul_i32 s15, s56, s30
	s_add_i32 s11, s56, s11
	s_sub_i32 s15, s45, s15
	s_lshr_b32 s57, s11, s25
	v_add_nc_u32_e32 v1, v34, v1
	s_mul_hi_u32 s11, s57, s40
	s_clause 0x1
	s_load_dwordx2 s[40:41], s[4:5], 0xac
	s_load_dwordx2 s[48:49], s[4:5], 0xbc
	s_add_i32 s11, s57, s11
	s_clause 0x2
	s_load_dwordx2 s[50:51], s[4:5], 0x74
	s_load_dwordx2 s[52:53], s[4:5], 0x84
	;; [unrolled: 1-line block ×3, first 2 shown]
	s_lshr_b32 s11, s11, s24
	s_mul_i32 s45, s45, s31
	s_mul_i32 s11, s11, s28
	s_sub_i32 s6, s6, s45
	s_waitcnt lgkmcnt(0)
	v_lshrrev_b32_e32 v3, s43, v1
	s_sub_i32 s11, s57, s11
	v_add_nc_u32_e32 v1, v39, v2
	s_mul_i32 s11, s11, s14
	s_mul_i32 s57, s57, s29
	v_mul_hi_u32 v2, v3, s34
	s_add_i32 s15, s15, s11
	v_lshrrev_b32_e32 v6, s43, v1
	s_lshl_b32 s19, s15, 7
	s_mov_b32 s11, 0x31014000
	v_or_b32_e32 v84, s19, v22
	s_mov_b32 s39, s11
	v_mul_hi_u32 v4, v6, s34
	v_add_nc_u32_e32 v2, v3, v2
	s_clause 0x1
	s_load_dword s34, s[4:5], 0x50
	s_load_dwordx4 s[20:23], s[4:5], 0x4c
	v_mul_hi_u32 v1, v84, s47
	s_clause 0x1
	s_load_dword s35, s[4:5], 0x5c
	s_load_dwordx4 s[24:27], s[4:5], 0x58
	s_waitcnt lgkmcnt(0)
	s_sub_i32 s25, s56, s57
	v_lshrrev_b32_e32 v7, s42, v2
	v_mul_lo_u32 v2, v3, s49
	v_add_nc_u32_e32 v4, v6, v4
	s_mul_i32 s25, s25, s58
	s_clause 0x4
	s_load_dword s23, s[4:5], 0x188
	s_load_dwordx2 s[14:15], s[4:5], 0x198
	s_load_dword s21, s[4:5], 0x1a4
	s_load_dword s27, s[4:5], 0x1b0
	;; [unrolled: 1-line block ×3, first 2 shown]
	v_mul_lo_u32 v5, v7, s48
	v_add_nc_u32_e32 v1, v84, v1
	v_lshrrev_b32_e32 v9, s42, v4
	s_add_i32 s6, s6, s25
	v_lshlrev_b32_e32 v81, 2, v82
	s_lshl_b32 s30, s6, 7
	v_lshrrev_b32_e32 v8, s41, v1
	v_sub_nc_u32_e32 v1, v34, v2
	v_sub_nc_u32_e32 v2, v3, v5
	;; [unrolled: 1-line block ×3, first 2 shown]
	v_or_b32_e32 v87, s30, v22
	v_mul_hi_u32 v10, v8, s46
	v_mov_b32_e32 v22, 0
	v_mad_u64_u32 v[3:4], null, v6, s49, v[1:2]
	v_mul_lo_u32 v1, v1, s3
	v_mul_lo_u32 v85, v11, s50
	v_or_b32_e32 v83, s19, v83
	v_add_nc_u32_e32 v82, s30, v82
	s_waitcnt lgkmcnt(0)
	s_lshl_b32 s18, s18, 1
	s_and_b32 s17, s17, 0xffff
	v_mad_u64_u32 v[4:5], null, v9, s48, v[2:3]
	v_add_nc_u32_e32 v9, v8, v10
	v_mul_lo_u32 v5, v7, s50
	v_sub_nc_u32_e32 v7, v39, v3
	v_mul_lo_u32 v2, v2, s52
	v_mul_lo_u32 v11, v85, s1
	v_lshrrev_b32_e32 v9, s40, v9
	v_sub_nc_u32_e32 v3, v6, v4
	v_mul_lo_u32 v4, v8, s55
	v_mul_lo_u32 v10, v7, s3
	s_mov_b32 s19, s11
	v_mul_lo_u32 v6, v9, s54
	v_mul_lo_u32 v86, v3, s52
	s_and_b32 s13, s13, 0xffff
	v_sub_nc_u32_e32 v3, v84, v4
	v_sub_nc_u32_e32 v4, v8, v6
	v_mul_lo_u32 v8, v9, s0
	v_mad_u64_u32 v[14:15], null, v3, s53, v[2:3]
	v_mul_lo_u32 v12, v86, s2
	v_mad_u64_u32 v[15:16], null, v4, s51, v[5:6]
	s_lshl_b32 s0, s37, 2
	s_and_b32 s37, s10, 0xffff
	s_lshl_b32 s10, s44, 1
	v_mad_u64_u32 v[2:3], null, v87, s38, v[13:14]
	v_subrev_nc_u32_e32 v3, s35, v14
	v_subrev_nc_u32_e32 v4, s34, v15
	s_lshl_b32 s38, s23, 1
	v_add_nc_u32_e32 v33, s0, v13
	v_mad_u64_u32 v[5:6], null, v3, s2, v[1:2]
	v_mul_lo_u32 v6, v4, s1
	v_lshlrev_b32_e32 v7, 1, v2
	v_add_lshl_u32 v9, v2, s0, 1
	v_cmp_gt_i32_e64 s2, s33, v33
	v_mov_b32_e32 v33, 0
	buffer_load_dwordx4 v[1:4], v7, s[36:39], 0 offen
	v_add3_u32 v16, v5, v8, v6
	buffer_load_dwordx4 v[5:8], v9, s[36:39], 0 offen
	v_add3_u32 v9, v11, v10, v12
	v_lshlrev_b32_e32 v10, 1, v16
	v_add_lshl_u32 v16, v9, v16, 1
	s_clause 0x1
	buffer_load_dwordx4 v[9:12], v10, s[8:11], 0 offen
	buffer_load_dwordx4 v[76:79], v16, s[8:11], 0 offen
	s_clause 0x5
	s_load_dword s6, s[4:5], 0xe4
	s_load_dword s1, s[4:5], 0xf0
	s_load_dwordx2 s[28:29], s[4:5], 0x1e8
	s_load_dword s10, s[4:5], 0x1f4
	s_load_dword s23, s[4:5], 0x200
	;; [unrolled: 1-line block ×3, first 2 shown]
	s_sub_i32 s8, s24, s26
	s_sub_i32 s9, s20, s22
	v_cmp_gt_i32_e64 s3, s8, v14
	v_cmp_gt_i32_e64 s4, s7, v87
	v_cmp_le_i32_e64 s7, s34, v15
	v_mov_b32_e32 v16, 0
	s_waitcnt lgkmcnt(0)
	v_cmp_gt_i32_e64 s5, s6, v84
	v_cmp_gt_i32_e32 vcc_lo, s1, v34
	v_cmp_gt_i32_e64 s0, s1, v39
	v_cmp_gt_i32_e64 s1, s33, v13
	v_add_nc_u32_e32 v13, v14, v86
	v_cmp_le_i32_e64 s6, s35, v14
	s_and_b32 s20, s3, vcc_lo
	v_add_nc_u32_e32 v14, v15, v85
	v_mov_b32_e32 v34, 0
	v_cmp_gt_i32_e64 s3, s8, v13
	v_cmp_le_i32_e32 vcc_lo, s35, v13
	v_cmp_gt_i32_e64 s8, s9, v15
	s_and_b32 s20, s20, s6
	v_cmp_le_i32_e64 s6, s34, v14
	v_cmp_gt_i32_e64 s9, s9, v14
	s_and_b32 s0, s3, s0
	s_and_b32 s3, s7, s8
	s_and_b32 s0, s0, vcc_lo
	s_and_b32 vcc_lo, s1, s4
	s_and_b32 s3, s20, s3
	s_and_b32 s6, s6, s9
	v_mov_b32_e32 v39, 0
	s_and_b32 s0, s0, s6
	s_waitcnt vmcnt(3)
	v_cndmask_b32_e32 v4, 0, v4, vcc_lo
	v_cndmask_b32_e32 v3, 0, v3, vcc_lo
	;; [unrolled: 1-line block ×4, first 2 shown]
	s_and_b32 vcc_lo, s2, s4
	s_waitcnt vmcnt(2)
	v_cndmask_b32_e32 v6, 0, v6, vcc_lo
	v_cndmask_b32_e32 v5, 0, v5, vcc_lo
	;; [unrolled: 1-line block ×4, first 2 shown]
	s_and_b32 vcc_lo, s5, s3
	ds_write2st64_b32 v0, v1, v2 offset0:64 offset1:66
	ds_write2st64_b32 v0, v3, v4 offset0:68 offset1:70
	;; [unrolled: 1-line block ×3, first 2 shown]
	s_waitcnt vmcnt(1)
	v_cndmask_b32_e32 v1, 0, v12, vcc_lo
	v_cndmask_b32_e32 v2, 0, v11, vcc_lo
	v_cndmask_b32_e32 v3, 0, v10, vcc_lo
	v_cndmask_b32_e32 v4, 0, v9, vcc_lo
	s_and_b32 vcc_lo, s5, s0
	s_lshl_b32 s0, s15, 6
	s_waitcnt vmcnt(0)
	v_cndmask_b32_e32 v6, 0, v77, vcc_lo
	v_cndmask_b32_e32 v9, 0, v76, vcc_lo
	;; [unrolled: 1-line block ×4, first 2 shown]
	ds_write2st64_b32 v0, v7, v8 offset0:76 offset1:78
	ds_write2st64_b32 v0, v4, v3 offset1:2
	ds_write2st64_b32 v0, v2, v1 offset0:4 offset1:6
	ds_write2st64_b32 v0, v9, v6 offset0:8 offset1:10
	;; [unrolled: 1-line block ×3, first 2 shown]
	s_waitcnt lgkmcnt(0)
	s_barrier
	buffer_gl0_inv
	ds_read_b128 v[0:3], v80
	ds_read_b128 v[4:7], v81 offset:16384
	ds_read_b128 v[8:11], v81 offset:16640
	;; [unrolled: 1-line block ×13, first 2 shown]
	v_mov_b32_e32 v78, 0
	v_mov_b32_e32 v79, 0
	;; [unrolled: 1-line block ×4, first 2 shown]
	v_cmp_gt_i32_e32 vcc_lo, s27, v82
	s_waitcnt lgkmcnt(10)
	v_dot2c_f32_f16 v74, v12, v8
	v_dot2c_f32_f16 v70, v12, v9
	;; [unrolled: 1-line block ×56, first 2 shown]
	ds_read_b128 v[0:3], v80 offset:1536
	ds_read_b128 v[4:7], v80 offset:1792
	v_dot2c_f32_f16 v78, v14, v8
	v_dot2c_f32_f16 v79, v14, v9
	v_dot2c_f32_f16 v33, v14, v10
	v_dot2c_f32_f16 v34, v14, v11
	v_dot2c_f32_f16 v77, v15, v8
	v_dot2c_f32_f16 v76, v15, v9
	v_dot2c_f32_f16 v39, v15, v10
	v_dot2c_f32_f16 v24, v15, v11
	s_waitcnt lgkmcnt(9)
	v_dot2c_f32_f16 v65, v92, v84
	v_dot2c_f32_f16 v66, v92, v85
	v_dot2c_f32_f16 v46, v92, v86
	v_dot2c_f32_f16 v47, v92, v87
	v_dot2c_f32_f16 v61, v93, v84
	v_dot2c_f32_f16 v62, v93, v85
	v_dot2c_f32_f16 v40, v93, v86
	v_dot2c_f32_f16 v41, v93, v87
	v_dot2c_f32_f16 v56, v94, v84
	v_dot2c_f32_f16 v57, v94, v85
	v_dot2c_f32_f16 v36, v94, v86
	v_dot2c_f32_f16 v37, v94, v87
	v_dot2c_f32_f16 v52, v95, v84
	v_dot2c_f32_f16 v53, v95, v85
	v_dot2c_f32_f16 v27, v95, v86
	v_dot2c_f32_f16 v28, v95, v87
	v_dot2c_f32_f16 v75, v92, v88
	v_dot2c_f32_f16 v72, v92, v89
	v_dot2c_f32_f16 v44, v92, v90
	v_dot2c_f32_f16 v45, v92, v91
	v_dot2c_f32_f16 v73, v93, v88
	v_dot2c_f32_f16 v69, v93, v89
	v_dot2c_f32_f16 v42, v93, v90
	v_dot2c_f32_f16 v43, v93, v91
	v_dot2c_f32_f16 v68, v94, v88
	v_dot2c_f32_f16 v64, v94, v89
	v_dot2c_f32_f16 v35, v94, v90
	v_dot2c_f32_f16 v38, v94, v91
	v_dot2c_f32_f16 v63, v95, v88
	v_dot2c_f32_f16 v58, v95, v89
	v_dot2c_f32_f16 v31, v95, v90
	v_dot2c_f32_f16 v32, v95, v91
	s_waitcnt lgkmcnt(8)
	v_dot2c_f32_f16 v59, v96, v84
	v_dot2c_f32_f16 v60, v96, v85
	v_dot2c_f32_f16 v16, v96, v86
	v_dot2c_f32_f16 v17, v96, v87
	v_dot2c_f32_f16 v54, v97, v84
	v_dot2c_f32_f16 v55, v97, v85
	v_dot2c_f32_f16 v20, v97, v86
	v_dot2c_f32_f16 v21, v97, v87
	v_dot2c_f32_f16 v50, v98, v84
	v_dot2c_f32_f16 v51, v98, v85
	v_dot2c_f32_f16 v25, v98, v86
	v_dot2c_f32_f16 v26, v98, v87
	v_dot2c_f32_f16 v48, v99, v84
	v_dot2c_f32_f16 v49, v99, v85
	v_dot2c_f32_f16 v29, v99, v86
	v_dot2c_f32_f16 v30, v99, v87
	v_dot2c_f32_f16 v74, v96, v88
	v_dot2c_f32_f16 v70, v96, v89
	v_dot2c_f32_f16 v18, v96, v90
	v_dot2c_f32_f16 v19, v96, v91
	v_dot2c_f32_f16 v71, v97, v88
	v_dot2c_f32_f16 v67, v97, v89
	v_dot2c_f32_f16 v22, v97, v90
	v_dot2c_f32_f16 v23, v97, v91
	v_dot2c_f32_f16 v78, v98, v88
	v_dot2c_f32_f16 v79, v98, v89
	v_dot2c_f32_f16 v33, v98, v90
	v_dot2c_f32_f16 v34, v98, v91
	v_dot2c_f32_f16 v77, v99, v88
	v_dot2c_f32_f16 v76, v99, v89
	v_dot2c_f32_f16 v39, v99, v90
	v_dot2c_f32_f16 v24, v99, v91
	s_waitcnt lgkmcnt(5)
	v_dot2c_f32_f16 v65, v108, v100
	v_dot2c_f32_f16 v66, v108, v101
	v_dot2c_f32_f16 v46, v108, v102
	v_dot2c_f32_f16 v47, v108, v103
	v_dot2c_f32_f16 v61, v109, v100
	v_dot2c_f32_f16 v62, v109, v101
	v_dot2c_f32_f16 v40, v109, v102
	v_dot2c_f32_f16 v41, v109, v103
	v_dot2c_f32_f16 v56, v110, v100
	v_dot2c_f32_f16 v57, v110, v101
	v_dot2c_f32_f16 v36, v110, v102
	v_dot2c_f32_f16 v37, v110, v103
	v_dot2c_f32_f16 v52, v111, v100
	v_dot2c_f32_f16 v53, v111, v101
	v_dot2c_f32_f16 v27, v111, v102
	v_dot2c_f32_f16 v28, v111, v103
	v_dot2c_f32_f16 v75, v108, v104
	v_dot2c_f32_f16 v72, v108, v105
	v_dot2c_f32_f16 v44, v108, v106
	v_dot2c_f32_f16 v45, v108, v107
	v_dot2c_f32_f16 v73, v109, v104
	v_dot2c_f32_f16 v69, v109, v105
	v_dot2c_f32_f16 v42, v109, v106
	v_dot2c_f32_f16 v43, v109, v107
	v_dot2c_f32_f16 v68, v110, v104
	v_dot2c_f32_f16 v64, v110, v105
	v_dot2c_f32_f16 v35, v110, v106
	v_dot2c_f32_f16 v38, v110, v107
	v_dot2c_f32_f16 v63, v111, v104
	v_dot2c_f32_f16 v58, v111, v105
	v_dot2c_f32_f16 v31, v111, v106
	v_dot2c_f32_f16 v32, v111, v107
	s_waitcnt lgkmcnt(4)
	v_dot2c_f32_f16 v59, v112, v100
	v_dot2c_f32_f16 v60, v112, v101
	v_dot2c_f32_f16 v16, v112, v102
	v_dot2c_f32_f16 v17, v112, v103
	v_dot2c_f32_f16 v54, v113, v100
	v_dot2c_f32_f16 v55, v113, v101
	v_dot2c_f32_f16 v20, v113, v102
	v_dot2c_f32_f16 v21, v113, v103
	v_dot2c_f32_f16 v50, v114, v100
	v_dot2c_f32_f16 v51, v114, v101
	v_dot2c_f32_f16 v25, v114, v102
	v_dot2c_f32_f16 v26, v114, v103
	v_dot2c_f32_f16 v48, v115, v100
	v_dot2c_f32_f16 v49, v115, v101
	v_dot2c_f32_f16 v29, v115, v102
	v_dot2c_f32_f16 v30, v115, v103
	v_dot2c_f32_f16 v74, v112, v104
	v_dot2c_f32_f16 v70, v112, v105
	v_dot2c_f32_f16 v18, v112, v106
	v_dot2c_f32_f16 v19, v112, v107
	v_dot2c_f32_f16 v71, v113, v104
	v_dot2c_f32_f16 v67, v113, v105
	v_dot2c_f32_f16 v22, v113, v106
	v_dot2c_f32_f16 v23, v113, v107
	v_dot2c_f32_f16 v78, v114, v104
	v_dot2c_f32_f16 v79, v114, v105
	v_dot2c_f32_f16 v33, v114, v106
	v_dot2c_f32_f16 v34, v114, v107
	v_dot2c_f32_f16 v77, v115, v104
	v_dot2c_f32_f16 v76, v115, v105
	v_dot2c_f32_f16 v39, v115, v106
	v_dot2c_f32_f16 v24, v115, v107
	ds_read_b128 v[8:11], v80 offset:2048
	ds_read_b128 v[12:15], v81 offset:18432
	s_waitcnt lgkmcnt(3)
	v_dot2c_f32_f16 v65, v0, v116
	v_dot2c_f32_f16 v66, v0, v117
	;; [unrolled: 1-line block ×32, first 2 shown]
	s_waitcnt lgkmcnt(2)
	v_dot2c_f32_f16 v59, v4, v116
	v_dot2c_f32_f16 v60, v4, v117
	;; [unrolled: 1-line block ×30, first 2 shown]
	ds_read_b128 v[0:3], v81 offset:18688
	ds_read_b128 v[84:87], v81 offset:18944
	v_dot2c_f32_f16 v39, v7, v122
	v_dot2c_f32_f16 v24, v7, v123
	ds_read_b128 v[4:7], v80 offset:2304
	s_waitcnt lgkmcnt(3)
	v_dot2c_f32_f16 v65, v8, v12
	v_dot2c_f32_f16 v66, v8, v13
	;; [unrolled: 1-line block ×16, first 2 shown]
	s_waitcnt lgkmcnt(2)
	v_dot2c_f32_f16 v75, v8, v0
	v_dot2c_f32_f16 v72, v8, v1
	;; [unrolled: 1-line block ×16, first 2 shown]
	ds_read_b128 v[8:11], v80 offset:2560
	s_waitcnt lgkmcnt(1)
	v_dot2c_f32_f16 v59, v4, v12
	v_dot2c_f32_f16 v60, v4, v13
	;; [unrolled: 1-line block ×30, first 2 shown]
	ds_read_b128 v[12:15], v81 offset:19200
	v_dot2c_f32_f16 v39, v7, v2
	v_dot2c_f32_f16 v24, v7, v3
	ds_read_b128 v[0:3], v80 offset:2816
	ds_read_b128 v[4:7], v80 offset:3072
	s_waitcnt lgkmcnt(3)
	v_dot2c_f32_f16 v65, v8, v84
	v_dot2c_f32_f16 v66, v8, v85
	;; [unrolled: 1-line block ×16, first 2 shown]
	ds_read_b128 v[88:91], v81 offset:21504
	s_waitcnt lgkmcnt(2)
	v_dot2c_f32_f16 v59, v0, v84
	v_dot2c_f32_f16 v60, v0, v85
	v_dot2c_f32_f16 v16, v0, v86
	v_dot2c_f32_f16 v17, v0, v87
	v_dot2c_f32_f16 v54, v1, v84
	v_dot2c_f32_f16 v55, v1, v85
	v_dot2c_f32_f16 v20, v1, v86
	v_dot2c_f32_f16 v21, v1, v87
	v_dot2c_f32_f16 v50, v2, v84
	v_dot2c_f32_f16 v51, v2, v85
	v_dot2c_f32_f16 v25, v2, v86
	v_dot2c_f32_f16 v26, v2, v87
	v_dot2c_f32_f16 v48, v3, v84
	v_dot2c_f32_f16 v49, v3, v85
	v_dot2c_f32_f16 v29, v3, v86
	v_dot2c_f32_f16 v30, v3, v87
	ds_read_b128 v[84:87], v81 offset:19712
	v_dot2c_f32_f16 v75, v8, v12
	v_dot2c_f32_f16 v72, v8, v13
	v_dot2c_f32_f16 v44, v8, v14
	v_dot2c_f32_f16 v45, v8, v15
	v_dot2c_f32_f16 v73, v9, v12
	v_dot2c_f32_f16 v69, v9, v13
	v_dot2c_f32_f16 v42, v9, v14
	v_dot2c_f32_f16 v43, v9, v15
	v_dot2c_f32_f16 v68, v10, v12
	v_dot2c_f32_f16 v64, v10, v13
	v_dot2c_f32_f16 v35, v10, v14
	v_dot2c_f32_f16 v38, v10, v15
	v_dot2c_f32_f16 v63, v11, v12
	v_dot2c_f32_f16 v58, v11, v13
	v_dot2c_f32_f16 v31, v11, v14
	v_dot2c_f32_f16 v32, v11, v15
	ds_read_b128 v[8:11], v81 offset:19456
	;; [unrolled: 17-line block ×3, first 2 shown]
	s_waitcnt lgkmcnt(2)
	v_dot2c_f32_f16 v75, v4, v84
	v_dot2c_f32_f16 v72, v4, v85
	;; [unrolled: 1-line block ×16, first 2 shown]
	ds_read_b128 v[12:15], v81 offset:19968
	s_waitcnt lgkmcnt(2)
	v_dot2c_f32_f16 v65, v4, v8
	v_dot2c_f32_f16 v66, v4, v9
	;; [unrolled: 1-line block ×16, first 2 shown]
	ds_read_b128 v[4:7], v80 offset:3584
	s_waitcnt lgkmcnt(2)
	v_dot2c_f32_f16 v59, v0, v8
	v_dot2c_f32_f16 v60, v0, v9
	;; [unrolled: 1-line block ×30, first 2 shown]
	ds_read_b128 v[8:11], v81 offset:20224
	v_dot2c_f32_f16 v39, v3, v86
	v_dot2c_f32_f16 v24, v3, v87
	ds_read_b128 v[0:3], v80 offset:3840
	s_waitcnt lgkmcnt(2)
	v_dot2c_f32_f16 v65, v4, v12
	v_dot2c_f32_f16 v66, v4, v13
	v_dot2c_f32_f16 v46, v4, v14
	v_dot2c_f32_f16 v47, v4, v15
	v_dot2c_f32_f16 v61, v5, v12
	v_dot2c_f32_f16 v62, v5, v13
	v_dot2c_f32_f16 v40, v5, v14
	v_dot2c_f32_f16 v41, v5, v15
	v_dot2c_f32_f16 v56, v6, v12
	v_dot2c_f32_f16 v57, v6, v13
	v_dot2c_f32_f16 v36, v6, v14
	v_dot2c_f32_f16 v37, v6, v15
	v_dot2c_f32_f16 v52, v7, v12
	v_dot2c_f32_f16 v53, v7, v13
	v_dot2c_f32_f16 v27, v7, v14
	v_dot2c_f32_f16 v28, v7, v15
	ds_read_b128 v[84:87], v81 offset:20480
	s_waitcnt lgkmcnt(2)
	v_dot2c_f32_f16 v75, v4, v8
	v_dot2c_f32_f16 v72, v4, v9
	v_dot2c_f32_f16 v44, v4, v10
	v_dot2c_f32_f16 v45, v4, v11
	v_dot2c_f32_f16 v73, v5, v8
	v_dot2c_f32_f16 v69, v5, v9
	v_dot2c_f32_f16 v42, v5, v10
	v_dot2c_f32_f16 v43, v5, v11
	v_dot2c_f32_f16 v68, v6, v8
	v_dot2c_f32_f16 v64, v6, v9
	v_dot2c_f32_f16 v35, v6, v10
	v_dot2c_f32_f16 v38, v6, v11
	v_dot2c_f32_f16 v63, v7, v8
	v_dot2c_f32_f16 v58, v7, v9
	;; [unrolled: 18-line block ×3, first 2 shown]
	v_dot2c_f32_f16 v29, v3, v14
	v_dot2c_f32_f16 v30, v3, v15
	;; [unrolled: 1-line block ×16, first 2 shown]
	ds_read_b128 v[12:15], v81 offset:20736
	v_dot2c_f32_f16 v39, v3, v10
	v_dot2c_f32_f16 v24, v3, v11
	ds_read_b128 v[0:3], v80 offset:4352
	s_waitcnt lgkmcnt(2)
	v_dot2c_f32_f16 v65, v4, v84
	v_dot2c_f32_f16 v66, v4, v85
	v_dot2c_f32_f16 v46, v4, v86
	v_dot2c_f32_f16 v47, v4, v87
	v_dot2c_f32_f16 v61, v5, v84
	v_dot2c_f32_f16 v62, v5, v85
	v_dot2c_f32_f16 v40, v5, v86
	v_dot2c_f32_f16 v41, v5, v87
	v_dot2c_f32_f16 v56, v6, v84
	v_dot2c_f32_f16 v57, v6, v85
	v_dot2c_f32_f16 v36, v6, v86
	v_dot2c_f32_f16 v37, v6, v87
	v_dot2c_f32_f16 v52, v7, v84
	v_dot2c_f32_f16 v53, v7, v85
	v_dot2c_f32_f16 v27, v7, v86
	v_dot2c_f32_f16 v28, v7, v87
	ds_read_b128 v[8:11], v81 offset:20992
	s_waitcnt lgkmcnt(2)
	v_dot2c_f32_f16 v75, v4, v12
	v_dot2c_f32_f16 v72, v4, v13
	v_dot2c_f32_f16 v44, v4, v14
	v_dot2c_f32_f16 v45, v4, v15
	v_dot2c_f32_f16 v73, v5, v12
	v_dot2c_f32_f16 v69, v5, v13
	v_dot2c_f32_f16 v42, v5, v14
	v_dot2c_f32_f16 v43, v5, v15
	v_dot2c_f32_f16 v68, v6, v12
	v_dot2c_f32_f16 v64, v6, v13
	v_dot2c_f32_f16 v35, v6, v14
	v_dot2c_f32_f16 v38, v6, v15
	v_dot2c_f32_f16 v63, v7, v12
	v_dot2c_f32_f16 v58, v7, v13
	;; [unrolled: 18-line block ×3, first 2 shown]
	v_dot2c_f32_f16 v29, v3, v86
	v_dot2c_f32_f16 v30, v3, v87
	v_dot2c_f32_f16 v74, v0, v12
	v_dot2c_f32_f16 v70, v0, v13
	v_dot2c_f32_f16 v18, v0, v14
	v_dot2c_f32_f16 v19, v0, v15
	v_dot2c_f32_f16 v71, v1, v12
	v_dot2c_f32_f16 v67, v1, v13
	v_dot2c_f32_f16 v22, v1, v14
	v_dot2c_f32_f16 v23, v1, v15
	v_dot2c_f32_f16 v78, v2, v12
	v_dot2c_f32_f16 v79, v2, v13
	v_dot2c_f32_f16 v33, v2, v14
	v_dot2c_f32_f16 v34, v2, v15
	v_dot2c_f32_f16 v77, v3, v12
	v_dot2c_f32_f16 v76, v3, v13
	ds_read_b128 v[84:87], v81 offset:21248
	v_dot2c_f32_f16 v39, v3, v14
	v_dot2c_f32_f16 v24, v3, v15
	ds_read_b128 v[0:3], v80 offset:4864
	s_waitcnt lgkmcnt(2)
	v_dot2c_f32_f16 v65, v4, v8
	v_dot2c_f32_f16 v66, v4, v9
	;; [unrolled: 1-line block ×16, first 2 shown]
	s_waitcnt lgkmcnt(1)
	v_dot2c_f32_f16 v75, v4, v84
	v_dot2c_f32_f16 v72, v4, v85
	v_dot2c_f32_f16 v44, v4, v86
	v_dot2c_f32_f16 v45, v4, v87
	v_dot2c_f32_f16 v73, v5, v84
	v_dot2c_f32_f16 v69, v5, v85
	v_dot2c_f32_f16 v42, v5, v86
	v_dot2c_f32_f16 v43, v5, v87
	v_dot2c_f32_f16 v68, v6, v84
	v_dot2c_f32_f16 v64, v6, v85
	v_dot2c_f32_f16 v35, v6, v86
	v_dot2c_f32_f16 v38, v6, v87
	v_dot2c_f32_f16 v63, v7, v84
	v_dot2c_f32_f16 v58, v7, v85
	v_dot2c_f32_f16 v31, v7, v86
	v_dot2c_f32_f16 v32, v7, v87
	ds_read_b128 v[4:7], v80 offset:5120
	s_waitcnt lgkmcnt(1)
	v_dot2c_f32_f16 v59, v0, v8
	v_dot2c_f32_f16 v60, v0, v9
	;; [unrolled: 1-line block ×30, first 2 shown]
	ds_read_b128 v[8:11], v81 offset:21760
	ds_read_b128 v[12:15], v81 offset:22016
	v_dot2c_f32_f16 v39, v3, v86
	v_dot2c_f32_f16 v24, v3, v87
	ds_read_b128 v[0:3], v80 offset:5376
	ds_read_b128 v[84:87], v80 offset:5632
	s_waitcnt lgkmcnt(4)
	v_dot2c_f32_f16 v65, v4, v88
	v_dot2c_f32_f16 v66, v4, v89
	v_dot2c_f32_f16 v46, v4, v90
	v_dot2c_f32_f16 v47, v4, v91
	v_dot2c_f32_f16 v61, v5, v88
	v_dot2c_f32_f16 v62, v5, v89
	v_dot2c_f32_f16 v40, v5, v90
	v_dot2c_f32_f16 v41, v5, v91
	v_dot2c_f32_f16 v56, v6, v88
	v_dot2c_f32_f16 v57, v6, v89
	v_dot2c_f32_f16 v36, v6, v90
	v_dot2c_f32_f16 v37, v6, v91
	v_dot2c_f32_f16 v52, v7, v88
	v_dot2c_f32_f16 v53, v7, v89
	v_dot2c_f32_f16 v27, v7, v90
	v_dot2c_f32_f16 v28, v7, v91
	s_waitcnt lgkmcnt(3)
	v_dot2c_f32_f16 v75, v4, v8
	v_dot2c_f32_f16 v72, v4, v9
	;; [unrolled: 1-line block ×16, first 2 shown]
	s_waitcnt lgkmcnt(1)
	v_dot2c_f32_f16 v74, v0, v8
	v_dot2c_f32_f16 v70, v0, v9
	;; [unrolled: 1-line block ×14, first 2 shown]
	ds_read_b128 v[4:7], v81 offset:22272
	v_dot2c_f32_f16 v39, v3, v10
	v_dot2c_f32_f16 v24, v3, v11
	ds_read_b128 v[8:11], v80 offset:5888
	v_dot2c_f32_f16 v59, v0, v88
	v_dot2c_f32_f16 v60, v0, v89
	;; [unrolled: 1-line block ×16, first 2 shown]
	s_waitcnt lgkmcnt(2)
	v_dot2c_f32_f16 v65, v84, v12
	v_dot2c_f32_f16 v66, v84, v13
	;; [unrolled: 1-line block ×16, first 2 shown]
	ds_read_b128 v[0:3], v80 offset:6144
	s_waitcnt lgkmcnt(1)
	v_dot2c_f32_f16 v59, v8, v12
	v_dot2c_f32_f16 v60, v8, v13
	;; [unrolled: 1-line block ×16, first 2 shown]
	ds_read_b128 v[12:15], v81 offset:22528
	v_dot2c_f32_f16 v75, v84, v4
	v_dot2c_f32_f16 v72, v84, v5
	v_dot2c_f32_f16 v44, v84, v6
	v_dot2c_f32_f16 v45, v84, v7
	v_mul_lo_u32 v84, v83, s14
	v_dot2c_f32_f16 v73, v85, v4
	v_dot2c_f32_f16 v69, v85, v5
	;; [unrolled: 1-line block ×7, first 2 shown]
	v_mad_u64_u32 v[84:85], null, v82, s15, v[84:85]
	v_dot2c_f32_f16 v19, v8, v7
	v_dot2c_f32_f16 v68, v86, v4
	;; [unrolled: 1-line block ×6, first 2 shown]
	v_lshlrev_b32_e32 v8, 1, v84
	v_dot2c_f32_f16 v58, v87, v5
	v_dot2c_f32_f16 v31, v87, v6
	;; [unrolled: 1-line block ×4, first 2 shown]
	buffer_load_dwordx2 v[88:89], v8, s[16:19], 0 offen
	v_add_lshl_u32 v8, v84, s0, 1
	v_add_nc_u32_e32 v84, s14, v84
	v_dot2c_f32_f16 v67, v9, v5
	v_dot2c_f32_f16 v22, v9, v6
	;; [unrolled: 1-line block ×3, first 2 shown]
	buffer_load_dwordx2 v[90:91], v8, s[16:19], 0 offen
	v_lshlrev_b32_e32 v85, 1, v84
	v_dot2c_f32_f16 v78, v10, v4
	v_dot2c_f32_f16 v79, v10, v5
	;; [unrolled: 1-line block ×4, first 2 shown]
	buffer_load_dwordx2 v[92:93], v85, s[16:19], 0 offen
	v_dot2c_f32_f16 v77, v11, v4
	v_dot2c_f32_f16 v76, v11, v5
	;; [unrolled: 1-line block ×4, first 2 shown]
	ds_read_b128 v[4:7], v81 offset:22784
	v_add_lshl_u32 v86, v84, s0, 1
	v_add_nc_u32_e32 v84, s14, v84
	s_waitcnt lgkmcnt(1)
	v_dot2c_f32_f16 v65, v0, v12
	v_dot2c_f32_f16 v66, v0, v13
	;; [unrolled: 1-line block ×3, first 2 shown]
	buffer_load_dwordx2 v[94:95], v86, s[16:19], 0 offen
	v_lshlrev_b32_e32 v85, 1, v84
	v_add_lshl_u32 v86, v84, s0, 1
	v_add_nc_u32_e32 v84, s14, v84
	v_dot2c_f32_f16 v47, v0, v15
	v_dot2c_f32_f16 v61, v1, v12
	s_clause 0x1
	buffer_load_dwordx2 v[96:97], v85, s[16:19], 0 offen
	buffer_load_dwordx2 v[98:99], v86, s[16:19], 0 offen
	v_add_lshl_u32 v85, v84, s0, 1
	v_dot2c_f32_f16 v62, v1, v13
	v_dot2c_f32_f16 v40, v1, v14
	;; [unrolled: 1-line block ×4, first 2 shown]
	buffer_load_dwordx2 v[102:103], v85, s[16:19], 0 offen
	s_waitcnt lgkmcnt(0)
	v_dot2c_f32_f16 v75, v0, v4
	v_dot2c_f32_f16 v72, v0, v5
	;; [unrolled: 1-line block ×4, first 2 shown]
	v_lshlrev_b32_e32 v0, 1, v84
	v_mad_u64_u32 v[84:85], null, s14, 61, v[84:85]
	v_dot2c_f32_f16 v57, v2, v13
	v_dot2c_f32_f16 v36, v2, v14
	buffer_load_dwordx2 v[100:101], v0, s[16:19], 0 offen
	ds_read_b128 v[8:11], v80 offset:6400
	v_dot2c_f32_f16 v37, v2, v15
	v_dot2c_f32_f16 v52, v3, v12
	v_lshlrev_b32_e32 v85, 1, v84
	v_add_lshl_u32 v86, v84, s0, 1
	v_add_nc_u32_e32 v84, s14, v84
	v_dot2c_f32_f16 v53, v3, v13
	v_dot2c_f32_f16 v27, v3, v14
	s_clause 0x1
	buffer_load_dwordx2 v[104:105], v85, s[16:19], 0 offen
	buffer_load_dwordx2 v[106:107], v86, s[16:19], 0 offen
	v_dot2c_f32_f16 v28, v3, v15
	v_dot2c_f32_f16 v73, v1, v4
	;; [unrolled: 1-line block ×13, first 2 shown]
	ds_read_b128 v[0:3], v80 offset:6656
	s_waitcnt lgkmcnt(1)
	v_dot2c_f32_f16 v59, v8, v12
	v_dot2c_f32_f16 v60, v8, v13
	;; [unrolled: 1-line block ×16, first 2 shown]
	v_lshlrev_b32_e32 v8, 1, v84
	v_add_lshl_u32 v9, v84, s0, 1
	v_dot2c_f32_f16 v50, v10, v12
	v_dot2c_f32_f16 v51, v10, v13
	;; [unrolled: 1-line block ×8, first 2 shown]
	ds_read_b128 v[12:15], v81 offset:23040
	v_dot2c_f32_f16 v78, v10, v4
	v_dot2c_f32_f16 v79, v10, v5
	;; [unrolled: 1-line block ×5, first 2 shown]
	s_clause 0x1
	buffer_load_dwordx2 v[108:109], v8, s[16:19], 0 offen
	buffer_load_dwordx2 v[110:111], v9, s[16:19], 0 offen
	v_dot2c_f32_f16 v76, v11, v5
	v_dot2c_f32_f16 v39, v11, v6
	;; [unrolled: 1-line block ×3, first 2 shown]
	ds_read_b128 v[4:7], v81 offset:23296
	ds_read_b128 v[8:11], v80 offset:6912
	v_add_nc_u32_e32 v84, s14, v84
	s_mov_b32 s15, s11
	v_lshlrev_b32_e32 v85, 1, v84
	s_waitcnt lgkmcnt(2)
	v_dot2c_f32_f16 v65, v0, v12
	v_dot2c_f32_f16 v66, v0, v13
	buffer_load_dwordx2 v[112:113], v85, s[16:19], 0 offen
	v_add_lshl_u32 v85, v84, s0, 1
	v_add_nc_u32_e32 v84, s14, v84
	v_dot2c_f32_f16 v46, v0, v14
	v_dot2c_f32_f16 v47, v0, v15
	;; [unrolled: 1-line block ×3, first 2 shown]
	buffer_load_dwordx2 v[114:115], v85, s[16:19], 0 offen
	v_dot2c_f32_f16 v62, v1, v13
	s_waitcnt lgkmcnt(1)
	v_dot2c_f32_f16 v75, v0, v4
	v_dot2c_f32_f16 v72, v0, v5
	;; [unrolled: 1-line block ×4, first 2 shown]
	v_add_lshl_u32 v0, v84, s0, 1
	v_dot2c_f32_f16 v40, v1, v14
	v_dot2c_f32_f16 v41, v1, v15
	;; [unrolled: 1-line block ×4, first 2 shown]
	buffer_load_dwordx2 v[118:119], v0, s[16:19], 0 offen
	v_lshlrev_b32_e32 v85, 1, v84
	v_dot2c_f32_f16 v36, v2, v14
	v_dot2c_f32_f16 v37, v2, v15
	;; [unrolled: 1-line block ×4, first 2 shown]
	buffer_load_dwordx2 v[116:117], v85, s[16:19], 0 offen
	v_dot2c_f32_f16 v27, v3, v14
	v_dot2c_f32_f16 v28, v3, v15
	;; [unrolled: 1-line block ×14, first 2 shown]
	ds_read_b128 v[0:3], v80 offset:7168
	s_waitcnt lgkmcnt(1)
	v_dot2c_f32_f16 v59, v8, v12
	v_dot2c_f32_f16 v60, v8, v13
	;; [unrolled: 1-line block ×15, first 2 shown]
	ds_read_b128 v[84:87], v81 offset:23552
	v_dot2c_f32_f16 v30, v11, v15
	v_dot2c_f32_f16 v74, v8, v4
	;; [unrolled: 1-line block ×15, first 2 shown]
	ds_read_b128 v[12:15], v81 offset:23808
	v_dot2c_f32_f16 v39, v11, v6
	v_dot2c_f32_f16 v24, v11, v7
	ds_read_b128 v[4:7], v80 offset:7424
	s_waitcnt lgkmcnt(2)
	v_dot2c_f32_f16 v65, v0, v84
	v_dot2c_f32_f16 v66, v0, v85
	;; [unrolled: 1-line block ×16, first 2 shown]
	s_waitcnt lgkmcnt(1)
	v_dot2c_f32_f16 v75, v0, v12
	v_dot2c_f32_f16 v72, v0, v13
	;; [unrolled: 1-line block ×16, first 2 shown]
	ds_read_b128 v[0:3], v80 offset:7680
	s_waitcnt lgkmcnt(1)
	v_dot2c_f32_f16 v59, v4, v84
	v_dot2c_f32_f16 v60, v4, v85
	;; [unrolled: 1-line block ×15, first 2 shown]
	ds_read_b128 v[8:11], v81 offset:24064
	v_dot2c_f32_f16 v30, v7, v87
	v_dot2c_f32_f16 v74, v4, v12
	;; [unrolled: 1-line block ×17, first 2 shown]
	ds_read_b128 v[4:7], v80 offset:7936
	ds_read_b128 v[84:87], v81 offset:24320
	v_cmp_gt_i32_e64 s0, s21, v83
	s_waitcnt lgkmcnt(2)
	v_dot2c_f32_f16 v46, v0, v10
	v_dot2c_f32_f16 v40, v1, v10
	;; [unrolled: 1-line block ×4, first 2 shown]
	s_and_b32 s1, s0, vcc_lo
	v_dot2c_f32_f16 v65, v0, v8
	v_dot2c_f32_f16 v66, v0, v9
	;; [unrolled: 1-line block ×6, first 2 shown]
	v_or_b32_e32 v12, 1, v83
	v_dot2c_f32_f16 v62, v1, v9
	v_dot2c_f32_f16 v41, v1, v11
	;; [unrolled: 1-line block ×5, first 2 shown]
	s_waitcnt lgkmcnt(1)
	v_dot2c_f32_f16 v16, v4, v10
	v_dot2c_f32_f16 v20, v5, v10
	;; [unrolled: 1-line block ×4, first 2 shown]
	v_add_nc_u32_e32 v10, 64, v82
	s_waitcnt lgkmcnt(0)
	v_dot2c_f32_f16 v75, v0, v84
	v_dot2c_f32_f16 v72, v0, v85
	;; [unrolled: 1-line block ×33, first 2 shown]
	v_or_b32_e32 v81, 3, v83
	v_dot2c_f32_f16 v71, v5, v84
	v_dot2c_f32_f16 v78, v6, v84
	s_waitcnt vmcnt(15)
	v_cndmask_b32_e64 v8, 0, v89, s1
	v_cndmask_b32_e64 v0, 0, v88, s1
	v_cmp_gt_i32_e64 s1, s27, v10
	v_dot2c_f32_f16 v77, v7, v84
	v_dot2c_f32_f16 v67, v5, v85
	;; [unrolled: 1-line block ×3, first 2 shown]
	v_cvt_f32_f16_e32 v1, v0
	s_and_b32 s0, s0, s1
	v_cvt_f32_f16_sdwa v0, v0 dst_sel:DWORD dst_unused:UNUSED_PAD src0_sel:WORD_1
	s_waitcnt vmcnt(14)
	v_cndmask_b32_e64 v2, 0, v90, s0
	v_cndmask_b32_e64 v11, 0, v91, s0
	v_cmp_gt_i32_e64 s0, s21, v12
	v_add_f32_e32 v1, v65, v1
	v_add_f32_e32 v0, v66, v0
	v_cvt_f32_f16_e32 v3, v2
	v_or_b32_e32 v66, 2, v83
	s_and_b32 s2, s0, vcc_lo
	v_max_f32_e32 v9, 0, v1
	v_max_f32_e32 v13, 0, v0
	v_add_f32_e32 v0, v75, v3
	s_waitcnt vmcnt(13)
	v_cndmask_b32_e64 v1, 0, v92, s2
	s_and_b32 s0, s0, s1
	v_cvt_f32_f16_sdwa v2, v2 dst_sel:DWORD dst_unused:UNUSED_PAD src0_sel:WORD_1
	s_waitcnt vmcnt(12)
	v_cndmask_b32_e64 v3, 0, v94, s0
	v_max_f32_e32 v65, 0, v0
	v_cvt_f32_f16_e32 v0, v1
	v_cvt_f32_f16_sdwa v1, v1 dst_sel:DWORD dst_unused:UNUSED_PAD src0_sel:WORD_1
	v_cndmask_b32_e64 v15, 0, v95, s0
	v_cmp_gt_i32_e64 s0, s21, v66
	v_cvt_f32_f16_e32 v4, v3
	v_add_f32_e32 v0, v61, v0
	v_add_f32_e32 v1, v62, v1
	;; [unrolled: 1-line block ×3, first 2 shown]
	v_cndmask_b32_e64 v14, 0, v93, s2
	s_and_b32 s2, s0, vcc_lo
	v_max_f32_e32 v62, 0, v0
	v_max_f32_e32 v72, 0, v1
	v_cvt_f32_f16_sdwa v0, v3 dst_sel:DWORD dst_unused:UNUSED_PAD src0_sel:WORD_1
	s_waitcnt vmcnt(11)
	v_cndmask_b32_e64 v1, 0, v96, s2
	s_and_b32 s0, s0, s1
	v_add_f32_e32 v4, v73, v4
	v_max_f32_e32 v61, 0, v2
	s_waitcnt vmcnt(10)
	v_cndmask_b32_e64 v2, 0, v98, s0
	v_cndmask_b32_e64 v80, 0, v99, s0
	v_add_f32_e32 v0, v69, v0
	v_cvt_f32_f16_e32 v3, v1
	v_cmp_gt_i32_e64 s0, s21, v81
	v_max_f32_e32 v73, 0, v4
	v_cvt_f32_f16_sdwa v1, v1 dst_sel:DWORD dst_unused:UNUSED_PAD src0_sel:WORD_1
	v_cvt_f32_f16_e32 v4, v2
	v_cndmask_b32_e64 v75, 0, v97, s2
	v_max_f32_e32 v69, 0, v0
	v_add_f32_e32 v0, v56, v3
	s_and_b32 s2, s0, vcc_lo
	v_add_f32_e32 v1, v57, v1
	v_add_f32_e32 v3, v68, v4
	s_waitcnt vmcnt(8)
	v_cndmask_b32_e64 v4, 0, v100, s2
	v_max_f32_e32 v57, 0, v0
	s_and_b32 s0, s0, s1
	v_or_b32_e32 v0, 64, v83
	v_max_f32_e32 v68, 0, v1
	v_max_f32_e32 v84, 0, v3
	v_cvt_f32_f16_sdwa v1, v2 dst_sel:DWORD dst_unused:UNUSED_PAD src0_sel:WORD_1
	v_cvt_f32_f16_e32 v2, v4
	v_cvt_f32_f16_sdwa v3, v4 dst_sel:DWORD dst_unused:UNUSED_PAD src0_sel:WORD_1
	v_cndmask_b32_e64 v4, 0, v102, s0
	v_dot2c_f32_f16 v76, v7, v85
	v_cndmask_b32_e64 v85, 0, v103, s0
	v_cmp_gt_i32_e64 s0, s21, v0
	v_dot2c_f32_f16 v22, v5, v86
	v_dot2c_f32_f16 v23, v5, v87
	v_cvt_f32_f16_e32 v5, v4
	v_cvt_f32_f16_sdwa v4, v4 dst_sel:DWORD dst_unused:UNUSED_PAD src0_sel:WORD_1
	v_add_f32_e32 v1, v64, v1
	v_add_f32_e32 v2, v52, v2
	v_cndmask_b32_e64 v56, 0, v101, s2
	s_and_b32 s2, s0, vcc_lo
	s_and_b32 s0, s0, s1
	v_dot2c_f32_f16 v39, v7, v86
	v_dot2c_f32_f16 v24, v7, v87
	s_waitcnt vmcnt(6)
	v_cndmask_b32_e64 v7, 0, v106, s0
	v_add_f32_e32 v58, v58, v4
	v_or_b32_e32 v4, 0x41, v83
	v_add_f32_e32 v3, v53, v3
	v_max_f32_e32 v52, 0, v1
	v_max_f32_e32 v53, 0, v2
	v_add_f32_e32 v1, v63, v5
	v_cndmask_b32_e64 v2, 0, v104, s2
	v_dot2c_f32_f16 v33, v6, v86
	v_dot2c_f32_f16 v34, v6, v87
	v_cndmask_b32_e64 v5, 0, v107, s0
	v_cvt_f32_f16_e32 v6, v7
	v_cmp_gt_i32_e64 s0, s21, v4
	v_cvt_f32_f16_sdwa v7, v7 dst_sel:DWORD dst_unused:UNUSED_PAD src0_sel:WORD_1
	v_max_f32_e32 v63, 0, v1
	v_cvt_f32_f16_e32 v1, v2
	v_cvt_f32_f16_sdwa v2, v2 dst_sel:DWORD dst_unused:UNUSED_PAD src0_sel:WORD_1
	v_max_f32_e32 v64, 0, v3
	v_cndmask_b32_e64 v3, 0, v105, s2
	s_and_b32 s2, s0, vcc_lo
	v_add_f32_e32 v7, v70, v7
	v_or_b32_e32 v70, 0x42, v83
	v_add_f32_e32 v2, v60, v2
	s_waitcnt vmcnt(5)
	v_cndmask_b32_e64 v60, 0, v108, s2
	s_and_b32 s0, s0, s1
	v_add_f32_e32 v6, v74, v6
	s_waitcnt vmcnt(4)
	v_cndmask_b32_e64 v74, 0, v111, s0
	v_cndmask_b32_e64 v86, 0, v110, s0
	v_cmp_gt_i32_e64 s0, s21, v70
	v_cvt_f32_f16_e32 v87, v60
	v_cvt_f32_f16_sdwa v60, v60 dst_sel:DWORD dst_unused:UNUSED_PAD src0_sel:WORD_1
	v_add_f32_e32 v1, v59, v1
	v_cndmask_b32_e64 v59, 0, v109, s2
	s_and_b32 s2, s0, vcc_lo
	v_cvt_f32_f16_e32 v88, v86
	v_max_f32_e32 v89, 0, v7
	v_add_f32_e32 v7, v54, v87
	v_add_f32_e32 v54, v55, v60
	v_cvt_f32_f16_sdwa v60, v86 dst_sel:DWORD dst_unused:UNUSED_PAD src0_sel:WORD_1
	s_waitcnt vmcnt(3)
	v_cndmask_b32_e64 v86, 0, v112, s2
	s_and_b32 s0, s0, s1
	v_max_f32_e32 v87, 0, v7
	v_add_f32_e32 v55, v71, v88
	v_add_f32_e32 v7, v67, v60
	v_cvt_f32_f16_e32 v60, v86
	v_cvt_f32_f16_sdwa v67, v86 dst_sel:DWORD dst_unused:UNUSED_PAD src0_sel:WORD_1
	v_or_b32_e32 v86, 0x43, v83
	s_waitcnt vmcnt(2)
	v_cndmask_b32_e64 v88, 0, v115, s0
	v_cndmask_b32_e64 v90, 0, v114, s0
	v_max_f32_e32 v91, 0, v7
	v_add_f32_e32 v7, v50, v60
	v_cmp_gt_i32_e64 s0, s21, v86
	v_add_f32_e32 v50, v51, v67
	v_cvt_f32_f16_e32 v51, v90
	v_cvt_f32_f16_sdwa v60, v90 dst_sel:DWORD dst_unused:UNUSED_PAD src0_sel:WORD_1
	v_max_f32_e32 v92, 0, v7
	s_and_b32 vcc_lo, s0, vcc_lo
	v_cvt_f16_f32_e32 v9, v9
	v_add_f32_e32 v7, v78, v51
	v_add_f32_e32 v51, v79, v60
	v_cvt_f16_f32_e32 v13, v13
	v_cndmask_b32_e64 v71, 0, v113, s2
	s_waitcnt vmcnt(0)
	v_cndmask_b32_e32 v90, 0, v116, vcc_lo
	v_cndmask_b32_e32 v67, 0, v117, vcc_lo
	s_and_b32 vcc_lo, s0, s1
	v_max_f32_e32 v93, 0, v7
	v_cndmask_b32_e32 v79, 0, v118, vcc_lo
	v_cvt_f32_f16_e32 v60, v90
	v_cvt_f32_f16_sdwa v90, v90 dst_sel:DWORD dst_unused:UNUSED_PAD src0_sel:WORD_1
	v_cndmask_b32_e32 v78, 0, v119, vcc_lo
	v_cmp_gt_i32_e32 vcc_lo, s23, v82
	v_cmp_gt_i32_e64 s1, s10, v83
	v_add_f32_e32 v7, v48, v60
	v_cvt_f32_f16_e32 v48, v79
	v_cvt_f32_f16_sdwa v60, v8 dst_sel:DWORD dst_unused:UNUSED_PAD src0_sel:WORD_1
	v_cvt_f32_f16_e32 v8, v8
	v_add_f32_e32 v49, v49, v90
	v_max_f32_e32 v90, 0, v7
	v_add_f32_e32 v7, v77, v48
	v_add_f32_e32 v47, v47, v60
	v_add_f32_e32 v8, v46, v8
	v_max_f32_e32 v48, 0, v49
	s_and_b32 s0, s1, vcc_lo
	v_max_f32_e32 v49, 0, v7
	v_mul_lo_u32 v7, v83, s28
	v_max_f32_e32 v8, 0, v8
	v_max_f32_e32 v47, 0, v47
	s_lshl_b32 s2, s29, 6
	s_lshl_b32 s14, s25, 1
	v_max_f32_e32 v58, 0, v58
	v_cvt_f16_f32_e32 v60, v8
	v_cvt_f16_f32_e32 v47, v47
	v_mad_u64_u32 v[7:8], null, v82, s29, v[7:8]
	v_pack_b32_f16 v8, v9, v13
	v_cvt_f32_f16_sdwa v13, v11 dst_sel:DWORD dst_unused:UNUSED_PAD src0_sel:WORD_1
	v_cvt_f32_f16_e32 v11, v11
	v_pack_b32_f16 v9, v60, v47
	v_cvt_f16_f32_e32 v47, v61
	v_cvt_f32_f16_sdwa v46, v79 dst_sel:DWORD dst_unused:UNUSED_PAD src0_sel:WORD_1
	v_add_f32_e32 v13, v45, v13
	v_add_f32_e32 v11, v44, v11
	v_cndmask_b32_e64 v44, 0x80000000, 0, s0
	v_cmp_gt_i32_e64 s0, s23, v10
	v_cvt_f16_f32_e32 v10, v65
	v_max_f32_e32 v13, 0, v13
	v_max_f32_e32 v11, 0, v11
	v_add_nc_u32_e32 v45, s2, v7
	s_and_b32 s1, s1, s0
	v_lshl_add_u32 v44, v7, 1, v44
	v_cvt_f16_f32_e32 v13, v13
	v_cvt_f16_f32_e32 v11, v11
	v_cndmask_b32_e64 v60, 0x80000000, 0, s1
	v_pack_b32_f16 v10, v10, v47
	v_cvt_f32_f16_sdwa v47, v15 dst_sel:DWORD dst_unused:UNUSED_PAD src0_sel:WORD_1
	v_cvt_f32_f16_e32 v15, v15
	v_pack_b32_f16 v11, v11, v13
	v_lshl_add_u32 v13, v45, 1, v60
	buffer_store_dwordx2 v[8:9], v44, s[12:15], 0 offen
	buffer_store_dwordx2 v[10:11], v13, s[12:15], 0 offen
	v_add_f32_e32 v43, v43, v47
	v_add_f32_e32 v8, v42, v15
	v_cmp_gt_i32_e64 s1, s10, v12
	v_cvt_f32_f16_sdwa v12, v14 dst_sel:DWORD dst_unused:UNUSED_PAD src0_sel:WORD_1
	v_cvt_f32_f16_e32 v13, v14
	v_max_f32_e32 v9, 0, v43
	v_max_f32_e32 v8, 0, v8
	s_and_b32 s3, s1, s0
	v_add_nc_u32_e32 v15, s28, v45
	v_cvt_f16_f32_e32 v10, v73
	v_cvt_f16_f32_e32 v11, v69
	;; [unrolled: 1-line block ×4, first 2 shown]
	v_cndmask_b32_e64 v42, 0x80000000, 0, s3
	v_add_f32_e32 v12, v41, v12
	v_add_f32_e32 v13, v40, v13
	v_pack_b32_f16 v8, v10, v11
	v_pack_b32_f16 v9, v14, v9
	v_lshl_add_u32 v14, v15, 1, v42
	v_max_f32_e32 v10, 0, v12
	v_max_f32_e32 v11, 0, v13
	v_cvt_f16_f32_e32 v12, v62
	v_cvt_f16_f32_e32 v13, v72
	v_cvt_f32_f16_sdwa v41, v75 dst_sel:DWORD dst_unused:UNUSED_PAD src0_sel:WORD_1
	v_cvt_f32_f16_e32 v42, v75
	v_cvt_f16_f32_e32 v40, v10
	s_and_b32 s1, s1, vcc_lo
	v_pack_b32_f16 v10, v12, v13
	v_add_f32_e32 v12, v37, v41
	v_add_f32_e32 v13, v36, v42
	v_cndmask_b32_e64 v43, 0x80000000, 0, s1
	v_cmp_gt_i32_e64 s1, s10, v66
	v_add_nc_u32_e32 v7, s28, v7
	v_cvt_f16_f32_e32 v11, v11
	v_max_f32_e32 v12, 0, v12
	v_max_f32_e32 v13, 0, v13
	s_and_b32 s3, s1, vcc_lo
	v_lshl_add_u32 v36, v7, 1, v43
	v_pack_b32_f16 v11, v11, v40
	v_cvt_f16_f32_e32 v37, v57
	v_cvt_f16_f32_e32 v40, v68
	v_cvt_f32_f16_sdwa v43, v80 dst_sel:DWORD dst_unused:UNUSED_PAD src0_sel:WORD_1
	v_add_nc_u32_e32 v7, s28, v7
	v_cvt_f16_f32_e32 v41, v12
	v_cvt_f16_f32_e32 v13, v13
	v_cndmask_b32_e64 v42, 0x80000000, 0, s3
	v_pack_b32_f16 v12, v37, v40
	v_cvt_f32_f16_e32 v37, v80
	v_add_f32_e32 v38, v38, v43
	v_pack_b32_f16 v13, v13, v41
	v_lshl_add_u32 v7, v7, 1, v42
	buffer_store_dwordx2 v[8:9], v14, s[12:15], 0 offen
	v_add_f32_e32 v8, v35, v37
	buffer_store_dwordx2 v[10:11], v36, s[12:15], 0 offen
	buffer_store_dwordx2 v[12:13], v7, s[12:15], 0 offen
	v_max_f32_e32 v7, 0, v38
	v_cvt_f16_f32_e32 v9, v84
	v_max_f32_e32 v8, 0, v8
	v_cvt_f16_f32_e32 v10, v52
	v_cvt_f32_f16_e32 v12, v85
	v_cvt_f16_f32_e32 v11, v7
	v_cvt_f32_f16_sdwa v7, v85 dst_sel:DWORD dst_unused:UNUSED_PAD src0_sel:WORD_1
	v_add_nc_u32_e32 v13, s28, v15
	v_cvt_f16_f32_e32 v8, v8
	s_and_b32 s1, s1, s0
	v_add_f32_e32 v46, v76, v46
	v_add_f32_e32 v15, v32, v7
	v_pack_b32_f16 v7, v9, v10
	v_add_f32_e32 v9, v31, v12
	v_pack_b32_f16 v8, v8, v11
	v_cvt_f16_f32_e32 v11, v63
	v_cvt_f16_f32_e32 v12, v58
	v_cvt_f32_f16_sdwa v31, v56 dst_sel:DWORD dst_unused:UNUSED_PAD src0_sel:WORD_1
	v_max_f32_e32 v9, 0, v9
	v_cvt_f32_f16_e32 v32, v56
	v_cndmask_b32_e64 v14, 0x80000000, 0, s1
	v_max_f32_e32 v10, 0, v15
	v_cmp_gt_i32_e64 s1, s10, v81
	v_cvt_f16_f32_e32 v35, v9
	v_pack_b32_f16 v9, v11, v12
	v_add_f32_e32 v11, v28, v31
	v_add_f32_e32 v12, v27, v32
	v_lshl_add_u32 v14, v13, 1, v14
	v_add_nc_u32_e32 v15, s28, v13
	v_cvt_f16_f32_e32 v10, v10
	v_max_f32_e32 v11, 0, v11
	v_max_f32_e32 v12, 0, v12
	v_cvt_f16_f32_e32 v31, v53
	v_cvt_f16_f32_e32 v32, v64
	s_and_b32 s3, s1, s0
	s_and_b32 s1, s1, vcc_lo
	v_pack_b32_f16 v10, v35, v10
	v_cndmask_b32_e64 v27, 0x80000000, 0, s3
	v_subrev_nc_u32_e32 v28, s2, v15
	v_cvt_f16_f32_e32 v35, v11
	v_cvt_f16_f32_e32 v12, v12
	v_cndmask_b32_e64 v36, 0x80000000, 0, s1
	v_pack_b32_f16 v11, v31, v32
	v_cvt_f32_f16_sdwa v31, v67 dst_sel:DWORD dst_unused:UNUSED_PAD src0_sel:WORD_1
	buffer_store_dwordx2 v[7:8], v14, s[12:15], 0 offen
	v_cvt_f32_f16_e32 v7, v67
	v_lshl_add_u32 v27, v15, 1, v27
	v_pack_b32_f16 v12, v12, v35
	v_lshl_add_u32 v32, v28, 1, v36
	v_add_f32_e32 v8, v30, v31
	v_add_f32_e32 v7, v29, v7
	v_cmp_gt_i32_e64 s1, s10, v86
	buffer_store_dwordx2 v[9:10], v27, s[12:15], 0 offen
	buffer_store_dwordx2 v[11:12], v32, s[12:15], 0 offen
	v_max_f32_e32 v8, 0, v8
	v_max_f32_e32 v7, 0, v7
	v_cvt_f32_f16_sdwa v12, v78 dst_sel:DWORD dst_unused:UNUSED_PAD src0_sel:WORD_1
	v_cvt_f32_f16_e32 v14, v78
	s_lshl_b32 s3, s28, 6
	s_and_b32 s4, s1, vcc_lo
	v_max_f32_e32 v46, 0, v46
	v_add_nc_u32_e32 v9, s3, v28
	v_cvt_f16_f32_e32 v10, v90
	v_cvt_f16_f32_e32 v11, v48
	;; [unrolled: 1-line block ×4, first 2 shown]
	v_cndmask_b32_e64 v28, 0x80000000, 0, s4
	v_add_f32_e32 v12, v24, v12
	v_add_f32_e32 v14, v39, v14
	v_pack_b32_f16 v7, v10, v11
	v_pack_b32_f16 v8, v27, v8
	v_lshl_add_u32 v24, v9, 1, v28
	v_max_f32_e32 v9, 0, v12
	v_max_f32_e32 v10, 0, v14
	v_cvt_f16_f32_e32 v12, v49
	v_cvt_f16_f32_e32 v14, v46
	v_cvt_f32_f16_sdwa v27, v88 dst_sel:DWORD dst_unused:UNUSED_PAD src0_sel:WORD_1
	v_cvt_f32_f16_e32 v28, v88
	s_and_b32 s1, s1, s0
	v_max_f32_e32 v51, 0, v51
	v_add_nc_u32_e32 v11, s3, v15
	v_cvt_f16_f32_e32 v15, v9
	v_cvt_f16_f32_e32 v10, v10
	v_cndmask_b32_e64 v29, 0x80000000, 0, s1
	v_pack_b32_f16 v9, v12, v14
	v_add_f32_e32 v12, v34, v27
	v_add_f32_e32 v14, v33, v28
	v_cmp_ge_i32_e64 s1, s10, v86
	v_pack_b32_f16 v10, v10, v15
	v_lshl_add_u32 v15, v11, 1, v29
	v_max_f32_e32 v11, 0, v12
	v_max_f32_e32 v12, 0, v14
	v_cvt_f16_f32_e32 v14, v93
	v_cvt_f16_f32_e32 v27, v51
	s_and_b32 s1, s1, s0
	v_cvt_f16_f32_e32 v28, v11
	v_add_nc_u32_e32 v13, s3, v13
	v_cvt_f16_f32_e32 v12, v12
	v_pack_b32_f16 v11, v14, v27
	v_cvt_f32_f16_sdwa v14, v71 dst_sel:DWORD dst_unused:UNUSED_PAD src0_sel:WORD_1
	v_cndmask_b32_e64 v29, 0x80000000, 0, s1
	v_max_f32_e32 v50, 0, v50
	buffer_store_dwordx2 v[7:8], v24, s[12:15], 0 offen
	v_pack_b32_f16 v12, v12, v28
	v_add_f32_e32 v7, v26, v14
	v_lshl_add_u32 v28, v13, 1, v29
	v_cmp_gt_i32_e64 s1, s10, v70
	buffer_store_dwordx2 v[9:10], v15, s[12:15], 0 offen
	buffer_store_dwordx2 v[11:12], v28, s[12:15], 0 offen
	v_subrev_nc_u32_e32 v9, s2, v13
	v_max_f32_e32 v7, 0, v7
	v_cvt_f16_f32_e32 v10, v92
	v_cvt_f16_f32_e32 v11, v50
	v_cvt_f32_f16_e32 v13, v59
	v_cvt_f32_f16_sdwa v14, v59 dst_sel:DWORD dst_unused:UNUSED_PAD src0_sel:WORD_1
	s_and_b32 s1, s1, vcc_lo
	v_cvt_f32_f16_e32 v27, v71
	v_cvt_f16_f32_e32 v12, v7
	v_cndmask_b32_e64 v15, 0x80000000, 0, s1
	v_pack_b32_f16 v7, v10, v11
	v_add_f32_e32 v10, v21, v14
	v_add_f32_e32 v11, v20, v13
	;; [unrolled: 1-line block ×3, first 2 shown]
	v_lshl_add_u32 v13, v9, 1, v15
	v_cvt_f32_f16_e32 v14, v74
	v_max_f32_e32 v10, 0, v10
	v_max_f32_e32 v11, 0, v11
	v_cvt_f32_f16_sdwa v15, v74 dst_sel:DWORD dst_unused:UNUSED_PAD src0_sel:WORD_1
	v_max_f32_e32 v8, 0, v8
	v_add_f32_e32 v14, v22, v14
	v_cvt_f16_f32_e32 v10, v10
	v_cvt_f16_f32_e32 v11, v11
	v_add_f32_e32 v15, v23, v15
	v_cmp_ge_i32_e64 s1, s10, v70
	v_max_f32_e32 v54, 0, v54
	v_cvt_f16_f32_e32 v8, v8
	v_pack_b32_f16 v10, v11, v10
	v_max_f32_e32 v11, 0, v14
	v_max_f32_e32 v14, 0, v15
	s_and_b32 s1, s1, vcc_lo
	v_max_f32_e32 v55, 0, v55
	v_pack_b32_f16 v8, v8, v12
	v_subrev_nc_u32_e32 v12, s28, v9
	v_cvt_f16_f32_e32 v9, v87
	v_cvt_f16_f32_e32 v20, v54
	v_cndmask_b32_e64 v15, 0x80000000, 0, s1
	v_cvt_f16_f32_e32 v14, v14
	v_cvt_f16_f32_e32 v22, v11
	v_max_f32_e32 v6, 0, v6
	v_pack_b32_f16 v9, v9, v20
	v_cvt_f16_f32_e32 v20, v55
	v_cvt_f16_f32_e32 v21, v91
	v_lshl_add_u32 v15, v12, 1, v15
	v_add_nc_u32_e32 v23, s2, v12
	v_pack_b32_f16 v12, v22, v14
	v_cvt_f32_f16_e32 v14, v5
	v_cvt_f32_f16_sdwa v5, v5 dst_sel:DWORD dst_unused:UNUSED_PAD src0_sel:WORD_1
	v_cmp_gt_i32_e64 s1, s10, v4
	v_pack_b32_f16 v11, v20, v21
	v_cvt_f16_f32_e32 v6, v6
	v_cvt_f16_f32_e32 v21, v89
	v_add_f32_e32 v19, v19, v5
	v_add_f32_e32 v14, v18, v14
	s_and_b32 s1, s1, s0
	v_max_f32_e32 v1, 0, v1
	v_pack_b32_f16 v5, v6, v21
	v_max_f32_e32 v6, 0, v19
	v_max_f32_e32 v14, 0, v14
	v_cvt_f32_f16_sdwa v19, v3 dst_sel:DWORD dst_unused:UNUSED_PAD src0_sel:WORD_1
	v_cvt_f32_f16_e32 v3, v3
	v_cndmask_b32_e64 v20, 0x80000000, 0, s1
	v_cmp_ge_i32_e64 s1, s10, v4
	v_cvt_f16_f32_e32 v4, v6
	v_cvt_f16_f32_e32 v6, v14
	v_add_f32_e32 v14, v17, v19
	v_add_f32_e32 v3, v16, v3
	s_and_b32 s0, s1, s0
	v_max_f32_e32 v2, 0, v2
	v_cndmask_b32_e64 v16, 0x80000000, 0, s0
	v_cmp_gt_i32_e64 s0, s10, v0
	v_lshl_add_u32 v18, v23, 1, v20
	v_subrev_nc_u32_e32 v20, s28, v23
	v_max_f32_e32 v14, 0, v14
	v_max_f32_e32 v3, 0, v3
	s_and_b32 s0, s0, vcc_lo
	v_cvt_f16_f32_e32 v0, v1
	v_subrev_nc_u32_e32 v17, s2, v20
	v_cvt_f16_f32_e32 v1, v2
	v_cvt_f16_f32_e32 v2, v14
	;; [unrolled: 1-line block ×3, first 2 shown]
	v_cndmask_b32_e64 v14, 0x80000000, 0, s0
	v_pack_b32_f16 v6, v6, v4
	v_lshl_add_u32 v4, v20, 1, v16
	v_pack_b32_f16 v0, v0, v1
	v_pack_b32_f16 v1, v3, v2
	v_lshl_add_u32 v2, v17, 1, v14
	buffer_store_dwordx2 v[7:8], v13, s[12:15], 0 offen
	buffer_store_dwordx2 v[9:10], v15, s[12:15], 0 offen
	;; [unrolled: 1-line block ×5, first 2 shown]
	s_endpgm
	.section	.rodata,"a",@progbits
	.p2align	6, 0x0
	.amdhsa_kernel _ZN2ck16tensor_operation6device12_GLOBAL__N_137kernel_grouped_conv_fwd_dl_multiple_dINS_32GridwiseGemmDlMultipleD_km_kn_mnILi256EDF16_fNS_5TupleIJDF16_EEEDF16_NS0_12element_wise11PassThroughES8_NS7_7AddReluELNS_25InMemoryDataOperationEnumE0ENS_16TensorDescriptorINS5_IJNS_5EmbedINS5_IJiiiiEEESD_Lb0EEENS_11PassThroughIiEENS_3PadIiiiLb0EEESI_SG_SG_NSC_INS5_IJiiEEESJ_Lb0EEESK_SG_NS_23Merge_v2_magic_divisionINS5_IJiiiEEEEESN_NS_8RightPadIiiLb0EEESP_NS_7UnMergeISJ_Lb0EEESG_EEENS5_IJNS_8SequenceIJLi0EEEENST_IJLi1EEEENST_IJLi2EEEENST_IJLi3EEEENST_IJLi4EEEENST_IJLi5EEEENST_IJLi6EEEENST_IJLi7EEEENST_IJLi8EEEENST_IJLi9ELi11ELi13EEEENST_IJLi10ELi12ELi14EEEENST_IJLi15EEEENST_IJLi16EEEENST_IJLi18EEEENST_IJLi17EEEEEEENS5_IJNST_IJLi1ELi2ELi3ELi4EEEESZ_S10_S11_S12_NST_IJLi9EEEENST_IJLi10ELi11EEEENST_IJLi12ELi13EEEENST_IJLi14EEEES15_S16_S18_S17_NST_IJLi19ELi20EEEENST_IJLi21EEEEEEENST_IJLi19ELi21ELi20EEEElEENSB_INS5_IJSR_SP_SP_SR_SG_EEENS5_IJSU_SV_SW_SY_SX_EEENS5_IJNST_IJLi1ELi2EEEESX_SY_NST_IJLi5ELi6EEEES11_EEENST_IJLi5ELi7ELi6EEEElEENSB_INS5_IJSK_SP_SP_EEENS5_IJSU_SV_SW_EEENS5_IJS1M_SX_SY_EEENST_IJLi3ELi4EEEElEELi128ELi128ELi16ELi2ELi4ELi4ELi1ENST_IJLi8ELi2EEEES1W_NST_IJLi8ELi1ELi1ELi2EEEENST_IJLi2ELi1ELi128ELi1EEEENST_IJLi1ELi2ELi0ELi3EEEES1Z_NST_IJLi4ELi1ELi1ELi2EEEES1Z_NST_IJLi1ELi1ELi1ELi2EEEES1X_S1Y_S1Z_S1Z_S20_S1Z_S21_NST_IJLi0ELi1ELi2ELi3ELi4ELi5EEEELi5ELi4EEEDF16_NS5_IJPKDF16_EEEDF16_S8_S8_S9_NSB_INS5_IJSE_SG_SI_SI_SG_SG_SK_SK_SG_SN_SN_SP_SP_SR_SG_SG_NSQ_INS5_IJiNS_17integral_constantIiLi128EEEEEELb0EEENSF_INS27_IiLi2EEEEEEEENS5_IJSU_SV_SW_SX_SY_SZ_S10_S11_S12_S13_S14_S15_S16_S17_S18_NST_IJLi19EEEES1G_NST_IJLi20EEEEEEENS5_IJS1A_SZ_S10_S11_S12_S1B_S1C_S1D_S1E_S15_S16_S18_S17_S1F_S1G_NST_IJLi22EEEENST_IJLi23ELi24EEEENST_IJLi25EEEEEEENST_IJLi22ELi23ELi24ELi25EEEElEENSB_INS5_IJSR_SP_SP_SR_SG_SG_S2A_S2C_EEENS5_IJSU_SV_SW_SY_SX_SZ_S11_S10_EEENS5_IJS1M_SX_SY_S1N_S11_S12_NST_IJLi9ELi10EEEENST_IJLi11EEEEEEENST_IJLi8ELi9ELi10ELi11EEEElEENS5_IJNSB_INS5_IJSK_SP_SP_NSQ_INS5_IJiS2B_NS27_IiLi64EEEEEELb0EEES2W_EEENS5_IJSU_SV_SW_SX_SY_EEENS5_IJS1M_SX_SY_NST_IJLi5ELi6ELi7EEEENST_IJLi8ELi9ELi10EEEEEEENST_IJLi5ELi6ELi7ELi8ELi9ELi10EEEElEEEEES33_NS_31BlockToCTileMap_M00_N00_M01_N01ILi128ELi128ES1V_Lb0EEENS1_30ComputePtrOffsetOfStridedBatchILi1ELi1ELi1EvEELb0ELb0EEEvPKT0_S3B_T1_PT2_T3_T4_T5_iT6_T7_T8_T9_T10_T11_
		.amdhsa_group_segment_fixed_size 32768
		.amdhsa_private_segment_fixed_size 0
		.amdhsa_kernarg_size 968
		.amdhsa_user_sgpr_count 6
		.amdhsa_user_sgpr_private_segment_buffer 1
		.amdhsa_user_sgpr_dispatch_ptr 0
		.amdhsa_user_sgpr_queue_ptr 0
		.amdhsa_user_sgpr_kernarg_segment_ptr 1
		.amdhsa_user_sgpr_dispatch_id 0
		.amdhsa_user_sgpr_flat_scratch_init 0
		.amdhsa_user_sgpr_private_segment_size 0
		.amdhsa_wavefront_size32 1
		.amdhsa_uses_dynamic_stack 0
		.amdhsa_system_sgpr_private_segment_wavefront_offset 0
		.amdhsa_system_sgpr_workgroup_id_x 1
		.amdhsa_system_sgpr_workgroup_id_y 0
		.amdhsa_system_sgpr_workgroup_id_z 0
		.amdhsa_system_sgpr_workgroup_info 0
		.amdhsa_system_vgpr_workitem_id 0
		.amdhsa_next_free_vgpr 124
		.amdhsa_next_free_sgpr 59
		.amdhsa_reserve_vcc 1
		.amdhsa_reserve_flat_scratch 0
		.amdhsa_float_round_mode_32 0
		.amdhsa_float_round_mode_16_64 0
		.amdhsa_float_denorm_mode_32 3
		.amdhsa_float_denorm_mode_16_64 3
		.amdhsa_dx10_clamp 1
		.amdhsa_ieee_mode 1
		.amdhsa_fp16_overflow 0
		.amdhsa_workgroup_processor_mode 1
		.amdhsa_memory_ordered 1
		.amdhsa_forward_progress 1
		.amdhsa_shared_vgpr_count 0
		.amdhsa_exception_fp_ieee_invalid_op 0
		.amdhsa_exception_fp_denorm_src 0
		.amdhsa_exception_fp_ieee_div_zero 0
		.amdhsa_exception_fp_ieee_overflow 0
		.amdhsa_exception_fp_ieee_underflow 0
		.amdhsa_exception_fp_ieee_inexact 0
		.amdhsa_exception_int_div_zero 0
	.end_amdhsa_kernel
	.section	.text._ZN2ck16tensor_operation6device12_GLOBAL__N_137kernel_grouped_conv_fwd_dl_multiple_dINS_32GridwiseGemmDlMultipleD_km_kn_mnILi256EDF16_fNS_5TupleIJDF16_EEEDF16_NS0_12element_wise11PassThroughES8_NS7_7AddReluELNS_25InMemoryDataOperationEnumE0ENS_16TensorDescriptorINS5_IJNS_5EmbedINS5_IJiiiiEEESD_Lb0EEENS_11PassThroughIiEENS_3PadIiiiLb0EEESI_SG_SG_NSC_INS5_IJiiEEESJ_Lb0EEESK_SG_NS_23Merge_v2_magic_divisionINS5_IJiiiEEEEESN_NS_8RightPadIiiLb0EEESP_NS_7UnMergeISJ_Lb0EEESG_EEENS5_IJNS_8SequenceIJLi0EEEENST_IJLi1EEEENST_IJLi2EEEENST_IJLi3EEEENST_IJLi4EEEENST_IJLi5EEEENST_IJLi6EEEENST_IJLi7EEEENST_IJLi8EEEENST_IJLi9ELi11ELi13EEEENST_IJLi10ELi12ELi14EEEENST_IJLi15EEEENST_IJLi16EEEENST_IJLi18EEEENST_IJLi17EEEEEEENS5_IJNST_IJLi1ELi2ELi3ELi4EEEESZ_S10_S11_S12_NST_IJLi9EEEENST_IJLi10ELi11EEEENST_IJLi12ELi13EEEENST_IJLi14EEEES15_S16_S18_S17_NST_IJLi19ELi20EEEENST_IJLi21EEEEEEENST_IJLi19ELi21ELi20EEEElEENSB_INS5_IJSR_SP_SP_SR_SG_EEENS5_IJSU_SV_SW_SY_SX_EEENS5_IJNST_IJLi1ELi2EEEESX_SY_NST_IJLi5ELi6EEEES11_EEENST_IJLi5ELi7ELi6EEEElEENSB_INS5_IJSK_SP_SP_EEENS5_IJSU_SV_SW_EEENS5_IJS1M_SX_SY_EEENST_IJLi3ELi4EEEElEELi128ELi128ELi16ELi2ELi4ELi4ELi1ENST_IJLi8ELi2EEEES1W_NST_IJLi8ELi1ELi1ELi2EEEENST_IJLi2ELi1ELi128ELi1EEEENST_IJLi1ELi2ELi0ELi3EEEES1Z_NST_IJLi4ELi1ELi1ELi2EEEES1Z_NST_IJLi1ELi1ELi1ELi2EEEES1X_S1Y_S1Z_S1Z_S20_S1Z_S21_NST_IJLi0ELi1ELi2ELi3ELi4ELi5EEEELi5ELi4EEEDF16_NS5_IJPKDF16_EEEDF16_S8_S8_S9_NSB_INS5_IJSE_SG_SI_SI_SG_SG_SK_SK_SG_SN_SN_SP_SP_SR_SG_SG_NSQ_INS5_IJiNS_17integral_constantIiLi128EEEEEELb0EEENSF_INS27_IiLi2EEEEEEEENS5_IJSU_SV_SW_SX_SY_SZ_S10_S11_S12_S13_S14_S15_S16_S17_S18_NST_IJLi19EEEES1G_NST_IJLi20EEEEEEENS5_IJS1A_SZ_S10_S11_S12_S1B_S1C_S1D_S1E_S15_S16_S18_S17_S1F_S1G_NST_IJLi22EEEENST_IJLi23ELi24EEEENST_IJLi25EEEEEEENST_IJLi22ELi23ELi24ELi25EEEElEENSB_INS5_IJSR_SP_SP_SR_SG_SG_S2A_S2C_EEENS5_IJSU_SV_SW_SY_SX_SZ_S11_S10_EEENS5_IJS1M_SX_SY_S1N_S11_S12_NST_IJLi9ELi10EEEENST_IJLi11EEEEEEENST_IJLi8ELi9ELi10ELi11EEEElEENS5_IJNSB_INS5_IJSK_SP_SP_NSQ_INS5_IJiS2B_NS27_IiLi64EEEEEELb0EEES2W_EEENS5_IJSU_SV_SW_SX_SY_EEENS5_IJS1M_SX_SY_NST_IJLi5ELi6ELi7EEEENST_IJLi8ELi9ELi10EEEEEEENST_IJLi5ELi6ELi7ELi8ELi9ELi10EEEElEEEEES33_NS_31BlockToCTileMap_M00_N00_M01_N01ILi128ELi128ES1V_Lb0EEENS1_30ComputePtrOffsetOfStridedBatchILi1ELi1ELi1EvEELb0ELb0EEEvPKT0_S3B_T1_PT2_T3_T4_T5_iT6_T7_T8_T9_T10_T11_,"axG",@progbits,_ZN2ck16tensor_operation6device12_GLOBAL__N_137kernel_grouped_conv_fwd_dl_multiple_dINS_32GridwiseGemmDlMultipleD_km_kn_mnILi256EDF16_fNS_5TupleIJDF16_EEEDF16_NS0_12element_wise11PassThroughES8_NS7_7AddReluELNS_25InMemoryDataOperationEnumE0ENS_16TensorDescriptorINS5_IJNS_5EmbedINS5_IJiiiiEEESD_Lb0EEENS_11PassThroughIiEENS_3PadIiiiLb0EEESI_SG_SG_NSC_INS5_IJiiEEESJ_Lb0EEESK_SG_NS_23Merge_v2_magic_divisionINS5_IJiiiEEEEESN_NS_8RightPadIiiLb0EEESP_NS_7UnMergeISJ_Lb0EEESG_EEENS5_IJNS_8SequenceIJLi0EEEENST_IJLi1EEEENST_IJLi2EEEENST_IJLi3EEEENST_IJLi4EEEENST_IJLi5EEEENST_IJLi6EEEENST_IJLi7EEEENST_IJLi8EEEENST_IJLi9ELi11ELi13EEEENST_IJLi10ELi12ELi14EEEENST_IJLi15EEEENST_IJLi16EEEENST_IJLi18EEEENST_IJLi17EEEEEEENS5_IJNST_IJLi1ELi2ELi3ELi4EEEESZ_S10_S11_S12_NST_IJLi9EEEENST_IJLi10ELi11EEEENST_IJLi12ELi13EEEENST_IJLi14EEEES15_S16_S18_S17_NST_IJLi19ELi20EEEENST_IJLi21EEEEEEENST_IJLi19ELi21ELi20EEEElEENSB_INS5_IJSR_SP_SP_SR_SG_EEENS5_IJSU_SV_SW_SY_SX_EEENS5_IJNST_IJLi1ELi2EEEESX_SY_NST_IJLi5ELi6EEEES11_EEENST_IJLi5ELi7ELi6EEEElEENSB_INS5_IJSK_SP_SP_EEENS5_IJSU_SV_SW_EEENS5_IJS1M_SX_SY_EEENST_IJLi3ELi4EEEElEELi128ELi128ELi16ELi2ELi4ELi4ELi1ENST_IJLi8ELi2EEEES1W_NST_IJLi8ELi1ELi1ELi2EEEENST_IJLi2ELi1ELi128ELi1EEEENST_IJLi1ELi2ELi0ELi3EEEES1Z_NST_IJLi4ELi1ELi1ELi2EEEES1Z_NST_IJLi1ELi1ELi1ELi2EEEES1X_S1Y_S1Z_S1Z_S20_S1Z_S21_NST_IJLi0ELi1ELi2ELi3ELi4ELi5EEEELi5ELi4EEEDF16_NS5_IJPKDF16_EEEDF16_S8_S8_S9_NSB_INS5_IJSE_SG_SI_SI_SG_SG_SK_SK_SG_SN_SN_SP_SP_SR_SG_SG_NSQ_INS5_IJiNS_17integral_constantIiLi128EEEEEELb0EEENSF_INS27_IiLi2EEEEEEEENS5_IJSU_SV_SW_SX_SY_SZ_S10_S11_S12_S13_S14_S15_S16_S17_S18_NST_IJLi19EEEES1G_NST_IJLi20EEEEEEENS5_IJS1A_SZ_S10_S11_S12_S1B_S1C_S1D_S1E_S15_S16_S18_S17_S1F_S1G_NST_IJLi22EEEENST_IJLi23ELi24EEEENST_IJLi25EEEEEEENST_IJLi22ELi23ELi24ELi25EEEElEENSB_INS5_IJSR_SP_SP_SR_SG_SG_S2A_S2C_EEENS5_IJSU_SV_SW_SY_SX_SZ_S11_S10_EEENS5_IJS1M_SX_SY_S1N_S11_S12_NST_IJLi9ELi10EEEENST_IJLi11EEEEEEENST_IJLi8ELi9ELi10ELi11EEEElEENS5_IJNSB_INS5_IJSK_SP_SP_NSQ_INS5_IJiS2B_NS27_IiLi64EEEEEELb0EEES2W_EEENS5_IJSU_SV_SW_SX_SY_EEENS5_IJS1M_SX_SY_NST_IJLi5ELi6ELi7EEEENST_IJLi8ELi9ELi10EEEEEEENST_IJLi5ELi6ELi7ELi8ELi9ELi10EEEElEEEEES33_NS_31BlockToCTileMap_M00_N00_M01_N01ILi128ELi128ES1V_Lb0EEENS1_30ComputePtrOffsetOfStridedBatchILi1ELi1ELi1EvEELb0ELb0EEEvPKT0_S3B_T1_PT2_T3_T4_T5_iT6_T7_T8_T9_T10_T11_,comdat
.Lfunc_end8:
	.size	_ZN2ck16tensor_operation6device12_GLOBAL__N_137kernel_grouped_conv_fwd_dl_multiple_dINS_32GridwiseGemmDlMultipleD_km_kn_mnILi256EDF16_fNS_5TupleIJDF16_EEEDF16_NS0_12element_wise11PassThroughES8_NS7_7AddReluELNS_25InMemoryDataOperationEnumE0ENS_16TensorDescriptorINS5_IJNS_5EmbedINS5_IJiiiiEEESD_Lb0EEENS_11PassThroughIiEENS_3PadIiiiLb0EEESI_SG_SG_NSC_INS5_IJiiEEESJ_Lb0EEESK_SG_NS_23Merge_v2_magic_divisionINS5_IJiiiEEEEESN_NS_8RightPadIiiLb0EEESP_NS_7UnMergeISJ_Lb0EEESG_EEENS5_IJNS_8SequenceIJLi0EEEENST_IJLi1EEEENST_IJLi2EEEENST_IJLi3EEEENST_IJLi4EEEENST_IJLi5EEEENST_IJLi6EEEENST_IJLi7EEEENST_IJLi8EEEENST_IJLi9ELi11ELi13EEEENST_IJLi10ELi12ELi14EEEENST_IJLi15EEEENST_IJLi16EEEENST_IJLi18EEEENST_IJLi17EEEEEEENS5_IJNST_IJLi1ELi2ELi3ELi4EEEESZ_S10_S11_S12_NST_IJLi9EEEENST_IJLi10ELi11EEEENST_IJLi12ELi13EEEENST_IJLi14EEEES15_S16_S18_S17_NST_IJLi19ELi20EEEENST_IJLi21EEEEEEENST_IJLi19ELi21ELi20EEEElEENSB_INS5_IJSR_SP_SP_SR_SG_EEENS5_IJSU_SV_SW_SY_SX_EEENS5_IJNST_IJLi1ELi2EEEESX_SY_NST_IJLi5ELi6EEEES11_EEENST_IJLi5ELi7ELi6EEEElEENSB_INS5_IJSK_SP_SP_EEENS5_IJSU_SV_SW_EEENS5_IJS1M_SX_SY_EEENST_IJLi3ELi4EEEElEELi128ELi128ELi16ELi2ELi4ELi4ELi1ENST_IJLi8ELi2EEEES1W_NST_IJLi8ELi1ELi1ELi2EEEENST_IJLi2ELi1ELi128ELi1EEEENST_IJLi1ELi2ELi0ELi3EEEES1Z_NST_IJLi4ELi1ELi1ELi2EEEES1Z_NST_IJLi1ELi1ELi1ELi2EEEES1X_S1Y_S1Z_S1Z_S20_S1Z_S21_NST_IJLi0ELi1ELi2ELi3ELi4ELi5EEEELi5ELi4EEEDF16_NS5_IJPKDF16_EEEDF16_S8_S8_S9_NSB_INS5_IJSE_SG_SI_SI_SG_SG_SK_SK_SG_SN_SN_SP_SP_SR_SG_SG_NSQ_INS5_IJiNS_17integral_constantIiLi128EEEEEELb0EEENSF_INS27_IiLi2EEEEEEEENS5_IJSU_SV_SW_SX_SY_SZ_S10_S11_S12_S13_S14_S15_S16_S17_S18_NST_IJLi19EEEES1G_NST_IJLi20EEEEEEENS5_IJS1A_SZ_S10_S11_S12_S1B_S1C_S1D_S1E_S15_S16_S18_S17_S1F_S1G_NST_IJLi22EEEENST_IJLi23ELi24EEEENST_IJLi25EEEEEEENST_IJLi22ELi23ELi24ELi25EEEElEENSB_INS5_IJSR_SP_SP_SR_SG_SG_S2A_S2C_EEENS5_IJSU_SV_SW_SY_SX_SZ_S11_S10_EEENS5_IJS1M_SX_SY_S1N_S11_S12_NST_IJLi9ELi10EEEENST_IJLi11EEEEEEENST_IJLi8ELi9ELi10ELi11EEEElEENS5_IJNSB_INS5_IJSK_SP_SP_NSQ_INS5_IJiS2B_NS27_IiLi64EEEEEELb0EEES2W_EEENS5_IJSU_SV_SW_SX_SY_EEENS5_IJS1M_SX_SY_NST_IJLi5ELi6ELi7EEEENST_IJLi8ELi9ELi10EEEEEEENST_IJLi5ELi6ELi7ELi8ELi9ELi10EEEElEEEEES33_NS_31BlockToCTileMap_M00_N00_M01_N01ILi128ELi128ES1V_Lb0EEENS1_30ComputePtrOffsetOfStridedBatchILi1ELi1ELi1EvEELb0ELb0EEEvPKT0_S3B_T1_PT2_T3_T4_T5_iT6_T7_T8_T9_T10_T11_, .Lfunc_end8-_ZN2ck16tensor_operation6device12_GLOBAL__N_137kernel_grouped_conv_fwd_dl_multiple_dINS_32GridwiseGemmDlMultipleD_km_kn_mnILi256EDF16_fNS_5TupleIJDF16_EEEDF16_NS0_12element_wise11PassThroughES8_NS7_7AddReluELNS_25InMemoryDataOperationEnumE0ENS_16TensorDescriptorINS5_IJNS_5EmbedINS5_IJiiiiEEESD_Lb0EEENS_11PassThroughIiEENS_3PadIiiiLb0EEESI_SG_SG_NSC_INS5_IJiiEEESJ_Lb0EEESK_SG_NS_23Merge_v2_magic_divisionINS5_IJiiiEEEEESN_NS_8RightPadIiiLb0EEESP_NS_7UnMergeISJ_Lb0EEESG_EEENS5_IJNS_8SequenceIJLi0EEEENST_IJLi1EEEENST_IJLi2EEEENST_IJLi3EEEENST_IJLi4EEEENST_IJLi5EEEENST_IJLi6EEEENST_IJLi7EEEENST_IJLi8EEEENST_IJLi9ELi11ELi13EEEENST_IJLi10ELi12ELi14EEEENST_IJLi15EEEENST_IJLi16EEEENST_IJLi18EEEENST_IJLi17EEEEEEENS5_IJNST_IJLi1ELi2ELi3ELi4EEEESZ_S10_S11_S12_NST_IJLi9EEEENST_IJLi10ELi11EEEENST_IJLi12ELi13EEEENST_IJLi14EEEES15_S16_S18_S17_NST_IJLi19ELi20EEEENST_IJLi21EEEEEEENST_IJLi19ELi21ELi20EEEElEENSB_INS5_IJSR_SP_SP_SR_SG_EEENS5_IJSU_SV_SW_SY_SX_EEENS5_IJNST_IJLi1ELi2EEEESX_SY_NST_IJLi5ELi6EEEES11_EEENST_IJLi5ELi7ELi6EEEElEENSB_INS5_IJSK_SP_SP_EEENS5_IJSU_SV_SW_EEENS5_IJS1M_SX_SY_EEENST_IJLi3ELi4EEEElEELi128ELi128ELi16ELi2ELi4ELi4ELi1ENST_IJLi8ELi2EEEES1W_NST_IJLi8ELi1ELi1ELi2EEEENST_IJLi2ELi1ELi128ELi1EEEENST_IJLi1ELi2ELi0ELi3EEEES1Z_NST_IJLi4ELi1ELi1ELi2EEEES1Z_NST_IJLi1ELi1ELi1ELi2EEEES1X_S1Y_S1Z_S1Z_S20_S1Z_S21_NST_IJLi0ELi1ELi2ELi3ELi4ELi5EEEELi5ELi4EEEDF16_NS5_IJPKDF16_EEEDF16_S8_S8_S9_NSB_INS5_IJSE_SG_SI_SI_SG_SG_SK_SK_SG_SN_SN_SP_SP_SR_SG_SG_NSQ_INS5_IJiNS_17integral_constantIiLi128EEEEEELb0EEENSF_INS27_IiLi2EEEEEEEENS5_IJSU_SV_SW_SX_SY_SZ_S10_S11_S12_S13_S14_S15_S16_S17_S18_NST_IJLi19EEEES1G_NST_IJLi20EEEEEEENS5_IJS1A_SZ_S10_S11_S12_S1B_S1C_S1D_S1E_S15_S16_S18_S17_S1F_S1G_NST_IJLi22EEEENST_IJLi23ELi24EEEENST_IJLi25EEEEEEENST_IJLi22ELi23ELi24ELi25EEEElEENSB_INS5_IJSR_SP_SP_SR_SG_SG_S2A_S2C_EEENS5_IJSU_SV_SW_SY_SX_SZ_S11_S10_EEENS5_IJS1M_SX_SY_S1N_S11_S12_NST_IJLi9ELi10EEEENST_IJLi11EEEEEEENST_IJLi8ELi9ELi10ELi11EEEElEENS5_IJNSB_INS5_IJSK_SP_SP_NSQ_INS5_IJiS2B_NS27_IiLi64EEEEEELb0EEES2W_EEENS5_IJSU_SV_SW_SX_SY_EEENS5_IJS1M_SX_SY_NST_IJLi5ELi6ELi7EEEENST_IJLi8ELi9ELi10EEEEEEENST_IJLi5ELi6ELi7ELi8ELi9ELi10EEEElEEEEES33_NS_31BlockToCTileMap_M00_N00_M01_N01ILi128ELi128ES1V_Lb0EEENS1_30ComputePtrOffsetOfStridedBatchILi1ELi1ELi1EvEELb0ELb0EEEvPKT0_S3B_T1_PT2_T3_T4_T5_iT6_T7_T8_T9_T10_T11_
                                        ; -- End function
	.set _ZN2ck16tensor_operation6device12_GLOBAL__N_137kernel_grouped_conv_fwd_dl_multiple_dINS_32GridwiseGemmDlMultipleD_km_kn_mnILi256EDF16_fNS_5TupleIJDF16_EEEDF16_NS0_12element_wise11PassThroughES8_NS7_7AddReluELNS_25InMemoryDataOperationEnumE0ENS_16TensorDescriptorINS5_IJNS_5EmbedINS5_IJiiiiEEESD_Lb0EEENS_11PassThroughIiEENS_3PadIiiiLb0EEESI_SG_SG_NSC_INS5_IJiiEEESJ_Lb0EEESK_SG_NS_23Merge_v2_magic_divisionINS5_IJiiiEEEEESN_NS_8RightPadIiiLb0EEESP_NS_7UnMergeISJ_Lb0EEESG_EEENS5_IJNS_8SequenceIJLi0EEEENST_IJLi1EEEENST_IJLi2EEEENST_IJLi3EEEENST_IJLi4EEEENST_IJLi5EEEENST_IJLi6EEEENST_IJLi7EEEENST_IJLi8EEEENST_IJLi9ELi11ELi13EEEENST_IJLi10ELi12ELi14EEEENST_IJLi15EEEENST_IJLi16EEEENST_IJLi18EEEENST_IJLi17EEEEEEENS5_IJNST_IJLi1ELi2ELi3ELi4EEEESZ_S10_S11_S12_NST_IJLi9EEEENST_IJLi10ELi11EEEENST_IJLi12ELi13EEEENST_IJLi14EEEES15_S16_S18_S17_NST_IJLi19ELi20EEEENST_IJLi21EEEEEEENST_IJLi19ELi21ELi20EEEElEENSB_INS5_IJSR_SP_SP_SR_SG_EEENS5_IJSU_SV_SW_SY_SX_EEENS5_IJNST_IJLi1ELi2EEEESX_SY_NST_IJLi5ELi6EEEES11_EEENST_IJLi5ELi7ELi6EEEElEENSB_INS5_IJSK_SP_SP_EEENS5_IJSU_SV_SW_EEENS5_IJS1M_SX_SY_EEENST_IJLi3ELi4EEEElEELi128ELi128ELi16ELi2ELi4ELi4ELi1ENST_IJLi8ELi2EEEES1W_NST_IJLi8ELi1ELi1ELi2EEEENST_IJLi2ELi1ELi128ELi1EEEENST_IJLi1ELi2ELi0ELi3EEEES1Z_NST_IJLi4ELi1ELi1ELi2EEEES1Z_NST_IJLi1ELi1ELi1ELi2EEEES1X_S1Y_S1Z_S1Z_S20_S1Z_S21_NST_IJLi0ELi1ELi2ELi3ELi4ELi5EEEELi5ELi4EEEDF16_NS5_IJPKDF16_EEEDF16_S8_S8_S9_NSB_INS5_IJSE_SG_SI_SI_SG_SG_SK_SK_SG_SN_SN_SP_SP_SR_SG_SG_NSQ_INS5_IJiNS_17integral_constantIiLi128EEEEEELb0EEENSF_INS27_IiLi2EEEEEEEENS5_IJSU_SV_SW_SX_SY_SZ_S10_S11_S12_S13_S14_S15_S16_S17_S18_NST_IJLi19EEEES1G_NST_IJLi20EEEEEEENS5_IJS1A_SZ_S10_S11_S12_S1B_S1C_S1D_S1E_S15_S16_S18_S17_S1F_S1G_NST_IJLi22EEEENST_IJLi23ELi24EEEENST_IJLi25EEEEEEENST_IJLi22ELi23ELi24ELi25EEEElEENSB_INS5_IJSR_SP_SP_SR_SG_SG_S2A_S2C_EEENS5_IJSU_SV_SW_SY_SX_SZ_S11_S10_EEENS5_IJS1M_SX_SY_S1N_S11_S12_NST_IJLi9ELi10EEEENST_IJLi11EEEEEEENST_IJLi8ELi9ELi10ELi11EEEElEENS5_IJNSB_INS5_IJSK_SP_SP_NSQ_INS5_IJiS2B_NS27_IiLi64EEEEEELb0EEES2W_EEENS5_IJSU_SV_SW_SX_SY_EEENS5_IJS1M_SX_SY_NST_IJLi5ELi6ELi7EEEENST_IJLi8ELi9ELi10EEEEEEENST_IJLi5ELi6ELi7ELi8ELi9ELi10EEEElEEEEES33_NS_31BlockToCTileMap_M00_N00_M01_N01ILi128ELi128ES1V_Lb0EEENS1_30ComputePtrOffsetOfStridedBatchILi1ELi1ELi1EvEELb0ELb0EEEvPKT0_S3B_T1_PT2_T3_T4_T5_iT6_T7_T8_T9_T10_T11_.num_vgpr, 124
	.set _ZN2ck16tensor_operation6device12_GLOBAL__N_137kernel_grouped_conv_fwd_dl_multiple_dINS_32GridwiseGemmDlMultipleD_km_kn_mnILi256EDF16_fNS_5TupleIJDF16_EEEDF16_NS0_12element_wise11PassThroughES8_NS7_7AddReluELNS_25InMemoryDataOperationEnumE0ENS_16TensorDescriptorINS5_IJNS_5EmbedINS5_IJiiiiEEESD_Lb0EEENS_11PassThroughIiEENS_3PadIiiiLb0EEESI_SG_SG_NSC_INS5_IJiiEEESJ_Lb0EEESK_SG_NS_23Merge_v2_magic_divisionINS5_IJiiiEEEEESN_NS_8RightPadIiiLb0EEESP_NS_7UnMergeISJ_Lb0EEESG_EEENS5_IJNS_8SequenceIJLi0EEEENST_IJLi1EEEENST_IJLi2EEEENST_IJLi3EEEENST_IJLi4EEEENST_IJLi5EEEENST_IJLi6EEEENST_IJLi7EEEENST_IJLi8EEEENST_IJLi9ELi11ELi13EEEENST_IJLi10ELi12ELi14EEEENST_IJLi15EEEENST_IJLi16EEEENST_IJLi18EEEENST_IJLi17EEEEEEENS5_IJNST_IJLi1ELi2ELi3ELi4EEEESZ_S10_S11_S12_NST_IJLi9EEEENST_IJLi10ELi11EEEENST_IJLi12ELi13EEEENST_IJLi14EEEES15_S16_S18_S17_NST_IJLi19ELi20EEEENST_IJLi21EEEEEEENST_IJLi19ELi21ELi20EEEElEENSB_INS5_IJSR_SP_SP_SR_SG_EEENS5_IJSU_SV_SW_SY_SX_EEENS5_IJNST_IJLi1ELi2EEEESX_SY_NST_IJLi5ELi6EEEES11_EEENST_IJLi5ELi7ELi6EEEElEENSB_INS5_IJSK_SP_SP_EEENS5_IJSU_SV_SW_EEENS5_IJS1M_SX_SY_EEENST_IJLi3ELi4EEEElEELi128ELi128ELi16ELi2ELi4ELi4ELi1ENST_IJLi8ELi2EEEES1W_NST_IJLi8ELi1ELi1ELi2EEEENST_IJLi2ELi1ELi128ELi1EEEENST_IJLi1ELi2ELi0ELi3EEEES1Z_NST_IJLi4ELi1ELi1ELi2EEEES1Z_NST_IJLi1ELi1ELi1ELi2EEEES1X_S1Y_S1Z_S1Z_S20_S1Z_S21_NST_IJLi0ELi1ELi2ELi3ELi4ELi5EEEELi5ELi4EEEDF16_NS5_IJPKDF16_EEEDF16_S8_S8_S9_NSB_INS5_IJSE_SG_SI_SI_SG_SG_SK_SK_SG_SN_SN_SP_SP_SR_SG_SG_NSQ_INS5_IJiNS_17integral_constantIiLi128EEEEEELb0EEENSF_INS27_IiLi2EEEEEEEENS5_IJSU_SV_SW_SX_SY_SZ_S10_S11_S12_S13_S14_S15_S16_S17_S18_NST_IJLi19EEEES1G_NST_IJLi20EEEEEEENS5_IJS1A_SZ_S10_S11_S12_S1B_S1C_S1D_S1E_S15_S16_S18_S17_S1F_S1G_NST_IJLi22EEEENST_IJLi23ELi24EEEENST_IJLi25EEEEEEENST_IJLi22ELi23ELi24ELi25EEEElEENSB_INS5_IJSR_SP_SP_SR_SG_SG_S2A_S2C_EEENS5_IJSU_SV_SW_SY_SX_SZ_S11_S10_EEENS5_IJS1M_SX_SY_S1N_S11_S12_NST_IJLi9ELi10EEEENST_IJLi11EEEEEEENST_IJLi8ELi9ELi10ELi11EEEElEENS5_IJNSB_INS5_IJSK_SP_SP_NSQ_INS5_IJiS2B_NS27_IiLi64EEEEEELb0EEES2W_EEENS5_IJSU_SV_SW_SX_SY_EEENS5_IJS1M_SX_SY_NST_IJLi5ELi6ELi7EEEENST_IJLi8ELi9ELi10EEEEEEENST_IJLi5ELi6ELi7ELi8ELi9ELi10EEEElEEEEES33_NS_31BlockToCTileMap_M00_N00_M01_N01ILi128ELi128ES1V_Lb0EEENS1_30ComputePtrOffsetOfStridedBatchILi1ELi1ELi1EvEELb0ELb0EEEvPKT0_S3B_T1_PT2_T3_T4_T5_iT6_T7_T8_T9_T10_T11_.num_agpr, 0
	.set _ZN2ck16tensor_operation6device12_GLOBAL__N_137kernel_grouped_conv_fwd_dl_multiple_dINS_32GridwiseGemmDlMultipleD_km_kn_mnILi256EDF16_fNS_5TupleIJDF16_EEEDF16_NS0_12element_wise11PassThroughES8_NS7_7AddReluELNS_25InMemoryDataOperationEnumE0ENS_16TensorDescriptorINS5_IJNS_5EmbedINS5_IJiiiiEEESD_Lb0EEENS_11PassThroughIiEENS_3PadIiiiLb0EEESI_SG_SG_NSC_INS5_IJiiEEESJ_Lb0EEESK_SG_NS_23Merge_v2_magic_divisionINS5_IJiiiEEEEESN_NS_8RightPadIiiLb0EEESP_NS_7UnMergeISJ_Lb0EEESG_EEENS5_IJNS_8SequenceIJLi0EEEENST_IJLi1EEEENST_IJLi2EEEENST_IJLi3EEEENST_IJLi4EEEENST_IJLi5EEEENST_IJLi6EEEENST_IJLi7EEEENST_IJLi8EEEENST_IJLi9ELi11ELi13EEEENST_IJLi10ELi12ELi14EEEENST_IJLi15EEEENST_IJLi16EEEENST_IJLi18EEEENST_IJLi17EEEEEEENS5_IJNST_IJLi1ELi2ELi3ELi4EEEESZ_S10_S11_S12_NST_IJLi9EEEENST_IJLi10ELi11EEEENST_IJLi12ELi13EEEENST_IJLi14EEEES15_S16_S18_S17_NST_IJLi19ELi20EEEENST_IJLi21EEEEEEENST_IJLi19ELi21ELi20EEEElEENSB_INS5_IJSR_SP_SP_SR_SG_EEENS5_IJSU_SV_SW_SY_SX_EEENS5_IJNST_IJLi1ELi2EEEESX_SY_NST_IJLi5ELi6EEEES11_EEENST_IJLi5ELi7ELi6EEEElEENSB_INS5_IJSK_SP_SP_EEENS5_IJSU_SV_SW_EEENS5_IJS1M_SX_SY_EEENST_IJLi3ELi4EEEElEELi128ELi128ELi16ELi2ELi4ELi4ELi1ENST_IJLi8ELi2EEEES1W_NST_IJLi8ELi1ELi1ELi2EEEENST_IJLi2ELi1ELi128ELi1EEEENST_IJLi1ELi2ELi0ELi3EEEES1Z_NST_IJLi4ELi1ELi1ELi2EEEES1Z_NST_IJLi1ELi1ELi1ELi2EEEES1X_S1Y_S1Z_S1Z_S20_S1Z_S21_NST_IJLi0ELi1ELi2ELi3ELi4ELi5EEEELi5ELi4EEEDF16_NS5_IJPKDF16_EEEDF16_S8_S8_S9_NSB_INS5_IJSE_SG_SI_SI_SG_SG_SK_SK_SG_SN_SN_SP_SP_SR_SG_SG_NSQ_INS5_IJiNS_17integral_constantIiLi128EEEEEELb0EEENSF_INS27_IiLi2EEEEEEEENS5_IJSU_SV_SW_SX_SY_SZ_S10_S11_S12_S13_S14_S15_S16_S17_S18_NST_IJLi19EEEES1G_NST_IJLi20EEEEEEENS5_IJS1A_SZ_S10_S11_S12_S1B_S1C_S1D_S1E_S15_S16_S18_S17_S1F_S1G_NST_IJLi22EEEENST_IJLi23ELi24EEEENST_IJLi25EEEEEEENST_IJLi22ELi23ELi24ELi25EEEElEENSB_INS5_IJSR_SP_SP_SR_SG_SG_S2A_S2C_EEENS5_IJSU_SV_SW_SY_SX_SZ_S11_S10_EEENS5_IJS1M_SX_SY_S1N_S11_S12_NST_IJLi9ELi10EEEENST_IJLi11EEEEEEENST_IJLi8ELi9ELi10ELi11EEEElEENS5_IJNSB_INS5_IJSK_SP_SP_NSQ_INS5_IJiS2B_NS27_IiLi64EEEEEELb0EEES2W_EEENS5_IJSU_SV_SW_SX_SY_EEENS5_IJS1M_SX_SY_NST_IJLi5ELi6ELi7EEEENST_IJLi8ELi9ELi10EEEEEEENST_IJLi5ELi6ELi7ELi8ELi9ELi10EEEElEEEEES33_NS_31BlockToCTileMap_M00_N00_M01_N01ILi128ELi128ES1V_Lb0EEENS1_30ComputePtrOffsetOfStridedBatchILi1ELi1ELi1EvEELb0ELb0EEEvPKT0_S3B_T1_PT2_T3_T4_T5_iT6_T7_T8_T9_T10_T11_.numbered_sgpr, 59
	.set _ZN2ck16tensor_operation6device12_GLOBAL__N_137kernel_grouped_conv_fwd_dl_multiple_dINS_32GridwiseGemmDlMultipleD_km_kn_mnILi256EDF16_fNS_5TupleIJDF16_EEEDF16_NS0_12element_wise11PassThroughES8_NS7_7AddReluELNS_25InMemoryDataOperationEnumE0ENS_16TensorDescriptorINS5_IJNS_5EmbedINS5_IJiiiiEEESD_Lb0EEENS_11PassThroughIiEENS_3PadIiiiLb0EEESI_SG_SG_NSC_INS5_IJiiEEESJ_Lb0EEESK_SG_NS_23Merge_v2_magic_divisionINS5_IJiiiEEEEESN_NS_8RightPadIiiLb0EEESP_NS_7UnMergeISJ_Lb0EEESG_EEENS5_IJNS_8SequenceIJLi0EEEENST_IJLi1EEEENST_IJLi2EEEENST_IJLi3EEEENST_IJLi4EEEENST_IJLi5EEEENST_IJLi6EEEENST_IJLi7EEEENST_IJLi8EEEENST_IJLi9ELi11ELi13EEEENST_IJLi10ELi12ELi14EEEENST_IJLi15EEEENST_IJLi16EEEENST_IJLi18EEEENST_IJLi17EEEEEEENS5_IJNST_IJLi1ELi2ELi3ELi4EEEESZ_S10_S11_S12_NST_IJLi9EEEENST_IJLi10ELi11EEEENST_IJLi12ELi13EEEENST_IJLi14EEEES15_S16_S18_S17_NST_IJLi19ELi20EEEENST_IJLi21EEEEEEENST_IJLi19ELi21ELi20EEEElEENSB_INS5_IJSR_SP_SP_SR_SG_EEENS5_IJSU_SV_SW_SY_SX_EEENS5_IJNST_IJLi1ELi2EEEESX_SY_NST_IJLi5ELi6EEEES11_EEENST_IJLi5ELi7ELi6EEEElEENSB_INS5_IJSK_SP_SP_EEENS5_IJSU_SV_SW_EEENS5_IJS1M_SX_SY_EEENST_IJLi3ELi4EEEElEELi128ELi128ELi16ELi2ELi4ELi4ELi1ENST_IJLi8ELi2EEEES1W_NST_IJLi8ELi1ELi1ELi2EEEENST_IJLi2ELi1ELi128ELi1EEEENST_IJLi1ELi2ELi0ELi3EEEES1Z_NST_IJLi4ELi1ELi1ELi2EEEES1Z_NST_IJLi1ELi1ELi1ELi2EEEES1X_S1Y_S1Z_S1Z_S20_S1Z_S21_NST_IJLi0ELi1ELi2ELi3ELi4ELi5EEEELi5ELi4EEEDF16_NS5_IJPKDF16_EEEDF16_S8_S8_S9_NSB_INS5_IJSE_SG_SI_SI_SG_SG_SK_SK_SG_SN_SN_SP_SP_SR_SG_SG_NSQ_INS5_IJiNS_17integral_constantIiLi128EEEEEELb0EEENSF_INS27_IiLi2EEEEEEEENS5_IJSU_SV_SW_SX_SY_SZ_S10_S11_S12_S13_S14_S15_S16_S17_S18_NST_IJLi19EEEES1G_NST_IJLi20EEEEEEENS5_IJS1A_SZ_S10_S11_S12_S1B_S1C_S1D_S1E_S15_S16_S18_S17_S1F_S1G_NST_IJLi22EEEENST_IJLi23ELi24EEEENST_IJLi25EEEEEEENST_IJLi22ELi23ELi24ELi25EEEElEENSB_INS5_IJSR_SP_SP_SR_SG_SG_S2A_S2C_EEENS5_IJSU_SV_SW_SY_SX_SZ_S11_S10_EEENS5_IJS1M_SX_SY_S1N_S11_S12_NST_IJLi9ELi10EEEENST_IJLi11EEEEEEENST_IJLi8ELi9ELi10ELi11EEEElEENS5_IJNSB_INS5_IJSK_SP_SP_NSQ_INS5_IJiS2B_NS27_IiLi64EEEEEELb0EEES2W_EEENS5_IJSU_SV_SW_SX_SY_EEENS5_IJS1M_SX_SY_NST_IJLi5ELi6ELi7EEEENST_IJLi8ELi9ELi10EEEEEEENST_IJLi5ELi6ELi7ELi8ELi9ELi10EEEElEEEEES33_NS_31BlockToCTileMap_M00_N00_M01_N01ILi128ELi128ES1V_Lb0EEENS1_30ComputePtrOffsetOfStridedBatchILi1ELi1ELi1EvEELb0ELb0EEEvPKT0_S3B_T1_PT2_T3_T4_T5_iT6_T7_T8_T9_T10_T11_.num_named_barrier, 0
	.set _ZN2ck16tensor_operation6device12_GLOBAL__N_137kernel_grouped_conv_fwd_dl_multiple_dINS_32GridwiseGemmDlMultipleD_km_kn_mnILi256EDF16_fNS_5TupleIJDF16_EEEDF16_NS0_12element_wise11PassThroughES8_NS7_7AddReluELNS_25InMemoryDataOperationEnumE0ENS_16TensorDescriptorINS5_IJNS_5EmbedINS5_IJiiiiEEESD_Lb0EEENS_11PassThroughIiEENS_3PadIiiiLb0EEESI_SG_SG_NSC_INS5_IJiiEEESJ_Lb0EEESK_SG_NS_23Merge_v2_magic_divisionINS5_IJiiiEEEEESN_NS_8RightPadIiiLb0EEESP_NS_7UnMergeISJ_Lb0EEESG_EEENS5_IJNS_8SequenceIJLi0EEEENST_IJLi1EEEENST_IJLi2EEEENST_IJLi3EEEENST_IJLi4EEEENST_IJLi5EEEENST_IJLi6EEEENST_IJLi7EEEENST_IJLi8EEEENST_IJLi9ELi11ELi13EEEENST_IJLi10ELi12ELi14EEEENST_IJLi15EEEENST_IJLi16EEEENST_IJLi18EEEENST_IJLi17EEEEEEENS5_IJNST_IJLi1ELi2ELi3ELi4EEEESZ_S10_S11_S12_NST_IJLi9EEEENST_IJLi10ELi11EEEENST_IJLi12ELi13EEEENST_IJLi14EEEES15_S16_S18_S17_NST_IJLi19ELi20EEEENST_IJLi21EEEEEEENST_IJLi19ELi21ELi20EEEElEENSB_INS5_IJSR_SP_SP_SR_SG_EEENS5_IJSU_SV_SW_SY_SX_EEENS5_IJNST_IJLi1ELi2EEEESX_SY_NST_IJLi5ELi6EEEES11_EEENST_IJLi5ELi7ELi6EEEElEENSB_INS5_IJSK_SP_SP_EEENS5_IJSU_SV_SW_EEENS5_IJS1M_SX_SY_EEENST_IJLi3ELi4EEEElEELi128ELi128ELi16ELi2ELi4ELi4ELi1ENST_IJLi8ELi2EEEES1W_NST_IJLi8ELi1ELi1ELi2EEEENST_IJLi2ELi1ELi128ELi1EEEENST_IJLi1ELi2ELi0ELi3EEEES1Z_NST_IJLi4ELi1ELi1ELi2EEEES1Z_NST_IJLi1ELi1ELi1ELi2EEEES1X_S1Y_S1Z_S1Z_S20_S1Z_S21_NST_IJLi0ELi1ELi2ELi3ELi4ELi5EEEELi5ELi4EEEDF16_NS5_IJPKDF16_EEEDF16_S8_S8_S9_NSB_INS5_IJSE_SG_SI_SI_SG_SG_SK_SK_SG_SN_SN_SP_SP_SR_SG_SG_NSQ_INS5_IJiNS_17integral_constantIiLi128EEEEEELb0EEENSF_INS27_IiLi2EEEEEEEENS5_IJSU_SV_SW_SX_SY_SZ_S10_S11_S12_S13_S14_S15_S16_S17_S18_NST_IJLi19EEEES1G_NST_IJLi20EEEEEEENS5_IJS1A_SZ_S10_S11_S12_S1B_S1C_S1D_S1E_S15_S16_S18_S17_S1F_S1G_NST_IJLi22EEEENST_IJLi23ELi24EEEENST_IJLi25EEEEEEENST_IJLi22ELi23ELi24ELi25EEEElEENSB_INS5_IJSR_SP_SP_SR_SG_SG_S2A_S2C_EEENS5_IJSU_SV_SW_SY_SX_SZ_S11_S10_EEENS5_IJS1M_SX_SY_S1N_S11_S12_NST_IJLi9ELi10EEEENST_IJLi11EEEEEEENST_IJLi8ELi9ELi10ELi11EEEElEENS5_IJNSB_INS5_IJSK_SP_SP_NSQ_INS5_IJiS2B_NS27_IiLi64EEEEEELb0EEES2W_EEENS5_IJSU_SV_SW_SX_SY_EEENS5_IJS1M_SX_SY_NST_IJLi5ELi6ELi7EEEENST_IJLi8ELi9ELi10EEEEEEENST_IJLi5ELi6ELi7ELi8ELi9ELi10EEEElEEEEES33_NS_31BlockToCTileMap_M00_N00_M01_N01ILi128ELi128ES1V_Lb0EEENS1_30ComputePtrOffsetOfStridedBatchILi1ELi1ELi1EvEELb0ELb0EEEvPKT0_S3B_T1_PT2_T3_T4_T5_iT6_T7_T8_T9_T10_T11_.private_seg_size, 0
	.set _ZN2ck16tensor_operation6device12_GLOBAL__N_137kernel_grouped_conv_fwd_dl_multiple_dINS_32GridwiseGemmDlMultipleD_km_kn_mnILi256EDF16_fNS_5TupleIJDF16_EEEDF16_NS0_12element_wise11PassThroughES8_NS7_7AddReluELNS_25InMemoryDataOperationEnumE0ENS_16TensorDescriptorINS5_IJNS_5EmbedINS5_IJiiiiEEESD_Lb0EEENS_11PassThroughIiEENS_3PadIiiiLb0EEESI_SG_SG_NSC_INS5_IJiiEEESJ_Lb0EEESK_SG_NS_23Merge_v2_magic_divisionINS5_IJiiiEEEEESN_NS_8RightPadIiiLb0EEESP_NS_7UnMergeISJ_Lb0EEESG_EEENS5_IJNS_8SequenceIJLi0EEEENST_IJLi1EEEENST_IJLi2EEEENST_IJLi3EEEENST_IJLi4EEEENST_IJLi5EEEENST_IJLi6EEEENST_IJLi7EEEENST_IJLi8EEEENST_IJLi9ELi11ELi13EEEENST_IJLi10ELi12ELi14EEEENST_IJLi15EEEENST_IJLi16EEEENST_IJLi18EEEENST_IJLi17EEEEEEENS5_IJNST_IJLi1ELi2ELi3ELi4EEEESZ_S10_S11_S12_NST_IJLi9EEEENST_IJLi10ELi11EEEENST_IJLi12ELi13EEEENST_IJLi14EEEES15_S16_S18_S17_NST_IJLi19ELi20EEEENST_IJLi21EEEEEEENST_IJLi19ELi21ELi20EEEElEENSB_INS5_IJSR_SP_SP_SR_SG_EEENS5_IJSU_SV_SW_SY_SX_EEENS5_IJNST_IJLi1ELi2EEEESX_SY_NST_IJLi5ELi6EEEES11_EEENST_IJLi5ELi7ELi6EEEElEENSB_INS5_IJSK_SP_SP_EEENS5_IJSU_SV_SW_EEENS5_IJS1M_SX_SY_EEENST_IJLi3ELi4EEEElEELi128ELi128ELi16ELi2ELi4ELi4ELi1ENST_IJLi8ELi2EEEES1W_NST_IJLi8ELi1ELi1ELi2EEEENST_IJLi2ELi1ELi128ELi1EEEENST_IJLi1ELi2ELi0ELi3EEEES1Z_NST_IJLi4ELi1ELi1ELi2EEEES1Z_NST_IJLi1ELi1ELi1ELi2EEEES1X_S1Y_S1Z_S1Z_S20_S1Z_S21_NST_IJLi0ELi1ELi2ELi3ELi4ELi5EEEELi5ELi4EEEDF16_NS5_IJPKDF16_EEEDF16_S8_S8_S9_NSB_INS5_IJSE_SG_SI_SI_SG_SG_SK_SK_SG_SN_SN_SP_SP_SR_SG_SG_NSQ_INS5_IJiNS_17integral_constantIiLi128EEEEEELb0EEENSF_INS27_IiLi2EEEEEEEENS5_IJSU_SV_SW_SX_SY_SZ_S10_S11_S12_S13_S14_S15_S16_S17_S18_NST_IJLi19EEEES1G_NST_IJLi20EEEEEEENS5_IJS1A_SZ_S10_S11_S12_S1B_S1C_S1D_S1E_S15_S16_S18_S17_S1F_S1G_NST_IJLi22EEEENST_IJLi23ELi24EEEENST_IJLi25EEEEEEENST_IJLi22ELi23ELi24ELi25EEEElEENSB_INS5_IJSR_SP_SP_SR_SG_SG_S2A_S2C_EEENS5_IJSU_SV_SW_SY_SX_SZ_S11_S10_EEENS5_IJS1M_SX_SY_S1N_S11_S12_NST_IJLi9ELi10EEEENST_IJLi11EEEEEEENST_IJLi8ELi9ELi10ELi11EEEElEENS5_IJNSB_INS5_IJSK_SP_SP_NSQ_INS5_IJiS2B_NS27_IiLi64EEEEEELb0EEES2W_EEENS5_IJSU_SV_SW_SX_SY_EEENS5_IJS1M_SX_SY_NST_IJLi5ELi6ELi7EEEENST_IJLi8ELi9ELi10EEEEEEENST_IJLi5ELi6ELi7ELi8ELi9ELi10EEEElEEEEES33_NS_31BlockToCTileMap_M00_N00_M01_N01ILi128ELi128ES1V_Lb0EEENS1_30ComputePtrOffsetOfStridedBatchILi1ELi1ELi1EvEELb0ELb0EEEvPKT0_S3B_T1_PT2_T3_T4_T5_iT6_T7_T8_T9_T10_T11_.uses_vcc, 1
	.set _ZN2ck16tensor_operation6device12_GLOBAL__N_137kernel_grouped_conv_fwd_dl_multiple_dINS_32GridwiseGemmDlMultipleD_km_kn_mnILi256EDF16_fNS_5TupleIJDF16_EEEDF16_NS0_12element_wise11PassThroughES8_NS7_7AddReluELNS_25InMemoryDataOperationEnumE0ENS_16TensorDescriptorINS5_IJNS_5EmbedINS5_IJiiiiEEESD_Lb0EEENS_11PassThroughIiEENS_3PadIiiiLb0EEESI_SG_SG_NSC_INS5_IJiiEEESJ_Lb0EEESK_SG_NS_23Merge_v2_magic_divisionINS5_IJiiiEEEEESN_NS_8RightPadIiiLb0EEESP_NS_7UnMergeISJ_Lb0EEESG_EEENS5_IJNS_8SequenceIJLi0EEEENST_IJLi1EEEENST_IJLi2EEEENST_IJLi3EEEENST_IJLi4EEEENST_IJLi5EEEENST_IJLi6EEEENST_IJLi7EEEENST_IJLi8EEEENST_IJLi9ELi11ELi13EEEENST_IJLi10ELi12ELi14EEEENST_IJLi15EEEENST_IJLi16EEEENST_IJLi18EEEENST_IJLi17EEEEEEENS5_IJNST_IJLi1ELi2ELi3ELi4EEEESZ_S10_S11_S12_NST_IJLi9EEEENST_IJLi10ELi11EEEENST_IJLi12ELi13EEEENST_IJLi14EEEES15_S16_S18_S17_NST_IJLi19ELi20EEEENST_IJLi21EEEEEEENST_IJLi19ELi21ELi20EEEElEENSB_INS5_IJSR_SP_SP_SR_SG_EEENS5_IJSU_SV_SW_SY_SX_EEENS5_IJNST_IJLi1ELi2EEEESX_SY_NST_IJLi5ELi6EEEES11_EEENST_IJLi5ELi7ELi6EEEElEENSB_INS5_IJSK_SP_SP_EEENS5_IJSU_SV_SW_EEENS5_IJS1M_SX_SY_EEENST_IJLi3ELi4EEEElEELi128ELi128ELi16ELi2ELi4ELi4ELi1ENST_IJLi8ELi2EEEES1W_NST_IJLi8ELi1ELi1ELi2EEEENST_IJLi2ELi1ELi128ELi1EEEENST_IJLi1ELi2ELi0ELi3EEEES1Z_NST_IJLi4ELi1ELi1ELi2EEEES1Z_NST_IJLi1ELi1ELi1ELi2EEEES1X_S1Y_S1Z_S1Z_S20_S1Z_S21_NST_IJLi0ELi1ELi2ELi3ELi4ELi5EEEELi5ELi4EEEDF16_NS5_IJPKDF16_EEEDF16_S8_S8_S9_NSB_INS5_IJSE_SG_SI_SI_SG_SG_SK_SK_SG_SN_SN_SP_SP_SR_SG_SG_NSQ_INS5_IJiNS_17integral_constantIiLi128EEEEEELb0EEENSF_INS27_IiLi2EEEEEEEENS5_IJSU_SV_SW_SX_SY_SZ_S10_S11_S12_S13_S14_S15_S16_S17_S18_NST_IJLi19EEEES1G_NST_IJLi20EEEEEEENS5_IJS1A_SZ_S10_S11_S12_S1B_S1C_S1D_S1E_S15_S16_S18_S17_S1F_S1G_NST_IJLi22EEEENST_IJLi23ELi24EEEENST_IJLi25EEEEEEENST_IJLi22ELi23ELi24ELi25EEEElEENSB_INS5_IJSR_SP_SP_SR_SG_SG_S2A_S2C_EEENS5_IJSU_SV_SW_SY_SX_SZ_S11_S10_EEENS5_IJS1M_SX_SY_S1N_S11_S12_NST_IJLi9ELi10EEEENST_IJLi11EEEEEEENST_IJLi8ELi9ELi10ELi11EEEElEENS5_IJNSB_INS5_IJSK_SP_SP_NSQ_INS5_IJiS2B_NS27_IiLi64EEEEEELb0EEES2W_EEENS5_IJSU_SV_SW_SX_SY_EEENS5_IJS1M_SX_SY_NST_IJLi5ELi6ELi7EEEENST_IJLi8ELi9ELi10EEEEEEENST_IJLi5ELi6ELi7ELi8ELi9ELi10EEEElEEEEES33_NS_31BlockToCTileMap_M00_N00_M01_N01ILi128ELi128ES1V_Lb0EEENS1_30ComputePtrOffsetOfStridedBatchILi1ELi1ELi1EvEELb0ELb0EEEvPKT0_S3B_T1_PT2_T3_T4_T5_iT6_T7_T8_T9_T10_T11_.uses_flat_scratch, 0
	.set _ZN2ck16tensor_operation6device12_GLOBAL__N_137kernel_grouped_conv_fwd_dl_multiple_dINS_32GridwiseGemmDlMultipleD_km_kn_mnILi256EDF16_fNS_5TupleIJDF16_EEEDF16_NS0_12element_wise11PassThroughES8_NS7_7AddReluELNS_25InMemoryDataOperationEnumE0ENS_16TensorDescriptorINS5_IJNS_5EmbedINS5_IJiiiiEEESD_Lb0EEENS_11PassThroughIiEENS_3PadIiiiLb0EEESI_SG_SG_NSC_INS5_IJiiEEESJ_Lb0EEESK_SG_NS_23Merge_v2_magic_divisionINS5_IJiiiEEEEESN_NS_8RightPadIiiLb0EEESP_NS_7UnMergeISJ_Lb0EEESG_EEENS5_IJNS_8SequenceIJLi0EEEENST_IJLi1EEEENST_IJLi2EEEENST_IJLi3EEEENST_IJLi4EEEENST_IJLi5EEEENST_IJLi6EEEENST_IJLi7EEEENST_IJLi8EEEENST_IJLi9ELi11ELi13EEEENST_IJLi10ELi12ELi14EEEENST_IJLi15EEEENST_IJLi16EEEENST_IJLi18EEEENST_IJLi17EEEEEEENS5_IJNST_IJLi1ELi2ELi3ELi4EEEESZ_S10_S11_S12_NST_IJLi9EEEENST_IJLi10ELi11EEEENST_IJLi12ELi13EEEENST_IJLi14EEEES15_S16_S18_S17_NST_IJLi19ELi20EEEENST_IJLi21EEEEEEENST_IJLi19ELi21ELi20EEEElEENSB_INS5_IJSR_SP_SP_SR_SG_EEENS5_IJSU_SV_SW_SY_SX_EEENS5_IJNST_IJLi1ELi2EEEESX_SY_NST_IJLi5ELi6EEEES11_EEENST_IJLi5ELi7ELi6EEEElEENSB_INS5_IJSK_SP_SP_EEENS5_IJSU_SV_SW_EEENS5_IJS1M_SX_SY_EEENST_IJLi3ELi4EEEElEELi128ELi128ELi16ELi2ELi4ELi4ELi1ENST_IJLi8ELi2EEEES1W_NST_IJLi8ELi1ELi1ELi2EEEENST_IJLi2ELi1ELi128ELi1EEEENST_IJLi1ELi2ELi0ELi3EEEES1Z_NST_IJLi4ELi1ELi1ELi2EEEES1Z_NST_IJLi1ELi1ELi1ELi2EEEES1X_S1Y_S1Z_S1Z_S20_S1Z_S21_NST_IJLi0ELi1ELi2ELi3ELi4ELi5EEEELi5ELi4EEEDF16_NS5_IJPKDF16_EEEDF16_S8_S8_S9_NSB_INS5_IJSE_SG_SI_SI_SG_SG_SK_SK_SG_SN_SN_SP_SP_SR_SG_SG_NSQ_INS5_IJiNS_17integral_constantIiLi128EEEEEELb0EEENSF_INS27_IiLi2EEEEEEEENS5_IJSU_SV_SW_SX_SY_SZ_S10_S11_S12_S13_S14_S15_S16_S17_S18_NST_IJLi19EEEES1G_NST_IJLi20EEEEEEENS5_IJS1A_SZ_S10_S11_S12_S1B_S1C_S1D_S1E_S15_S16_S18_S17_S1F_S1G_NST_IJLi22EEEENST_IJLi23ELi24EEEENST_IJLi25EEEEEEENST_IJLi22ELi23ELi24ELi25EEEElEENSB_INS5_IJSR_SP_SP_SR_SG_SG_S2A_S2C_EEENS5_IJSU_SV_SW_SY_SX_SZ_S11_S10_EEENS5_IJS1M_SX_SY_S1N_S11_S12_NST_IJLi9ELi10EEEENST_IJLi11EEEEEEENST_IJLi8ELi9ELi10ELi11EEEElEENS5_IJNSB_INS5_IJSK_SP_SP_NSQ_INS5_IJiS2B_NS27_IiLi64EEEEEELb0EEES2W_EEENS5_IJSU_SV_SW_SX_SY_EEENS5_IJS1M_SX_SY_NST_IJLi5ELi6ELi7EEEENST_IJLi8ELi9ELi10EEEEEEENST_IJLi5ELi6ELi7ELi8ELi9ELi10EEEElEEEEES33_NS_31BlockToCTileMap_M00_N00_M01_N01ILi128ELi128ES1V_Lb0EEENS1_30ComputePtrOffsetOfStridedBatchILi1ELi1ELi1EvEELb0ELb0EEEvPKT0_S3B_T1_PT2_T3_T4_T5_iT6_T7_T8_T9_T10_T11_.has_dyn_sized_stack, 0
	.set _ZN2ck16tensor_operation6device12_GLOBAL__N_137kernel_grouped_conv_fwd_dl_multiple_dINS_32GridwiseGemmDlMultipleD_km_kn_mnILi256EDF16_fNS_5TupleIJDF16_EEEDF16_NS0_12element_wise11PassThroughES8_NS7_7AddReluELNS_25InMemoryDataOperationEnumE0ENS_16TensorDescriptorINS5_IJNS_5EmbedINS5_IJiiiiEEESD_Lb0EEENS_11PassThroughIiEENS_3PadIiiiLb0EEESI_SG_SG_NSC_INS5_IJiiEEESJ_Lb0EEESK_SG_NS_23Merge_v2_magic_divisionINS5_IJiiiEEEEESN_NS_8RightPadIiiLb0EEESP_NS_7UnMergeISJ_Lb0EEESG_EEENS5_IJNS_8SequenceIJLi0EEEENST_IJLi1EEEENST_IJLi2EEEENST_IJLi3EEEENST_IJLi4EEEENST_IJLi5EEEENST_IJLi6EEEENST_IJLi7EEEENST_IJLi8EEEENST_IJLi9ELi11ELi13EEEENST_IJLi10ELi12ELi14EEEENST_IJLi15EEEENST_IJLi16EEEENST_IJLi18EEEENST_IJLi17EEEEEEENS5_IJNST_IJLi1ELi2ELi3ELi4EEEESZ_S10_S11_S12_NST_IJLi9EEEENST_IJLi10ELi11EEEENST_IJLi12ELi13EEEENST_IJLi14EEEES15_S16_S18_S17_NST_IJLi19ELi20EEEENST_IJLi21EEEEEEENST_IJLi19ELi21ELi20EEEElEENSB_INS5_IJSR_SP_SP_SR_SG_EEENS5_IJSU_SV_SW_SY_SX_EEENS5_IJNST_IJLi1ELi2EEEESX_SY_NST_IJLi5ELi6EEEES11_EEENST_IJLi5ELi7ELi6EEEElEENSB_INS5_IJSK_SP_SP_EEENS5_IJSU_SV_SW_EEENS5_IJS1M_SX_SY_EEENST_IJLi3ELi4EEEElEELi128ELi128ELi16ELi2ELi4ELi4ELi1ENST_IJLi8ELi2EEEES1W_NST_IJLi8ELi1ELi1ELi2EEEENST_IJLi2ELi1ELi128ELi1EEEENST_IJLi1ELi2ELi0ELi3EEEES1Z_NST_IJLi4ELi1ELi1ELi2EEEES1Z_NST_IJLi1ELi1ELi1ELi2EEEES1X_S1Y_S1Z_S1Z_S20_S1Z_S21_NST_IJLi0ELi1ELi2ELi3ELi4ELi5EEEELi5ELi4EEEDF16_NS5_IJPKDF16_EEEDF16_S8_S8_S9_NSB_INS5_IJSE_SG_SI_SI_SG_SG_SK_SK_SG_SN_SN_SP_SP_SR_SG_SG_NSQ_INS5_IJiNS_17integral_constantIiLi128EEEEEELb0EEENSF_INS27_IiLi2EEEEEEEENS5_IJSU_SV_SW_SX_SY_SZ_S10_S11_S12_S13_S14_S15_S16_S17_S18_NST_IJLi19EEEES1G_NST_IJLi20EEEEEEENS5_IJS1A_SZ_S10_S11_S12_S1B_S1C_S1D_S1E_S15_S16_S18_S17_S1F_S1G_NST_IJLi22EEEENST_IJLi23ELi24EEEENST_IJLi25EEEEEEENST_IJLi22ELi23ELi24ELi25EEEElEENSB_INS5_IJSR_SP_SP_SR_SG_SG_S2A_S2C_EEENS5_IJSU_SV_SW_SY_SX_SZ_S11_S10_EEENS5_IJS1M_SX_SY_S1N_S11_S12_NST_IJLi9ELi10EEEENST_IJLi11EEEEEEENST_IJLi8ELi9ELi10ELi11EEEElEENS5_IJNSB_INS5_IJSK_SP_SP_NSQ_INS5_IJiS2B_NS27_IiLi64EEEEEELb0EEES2W_EEENS5_IJSU_SV_SW_SX_SY_EEENS5_IJS1M_SX_SY_NST_IJLi5ELi6ELi7EEEENST_IJLi8ELi9ELi10EEEEEEENST_IJLi5ELi6ELi7ELi8ELi9ELi10EEEElEEEEES33_NS_31BlockToCTileMap_M00_N00_M01_N01ILi128ELi128ES1V_Lb0EEENS1_30ComputePtrOffsetOfStridedBatchILi1ELi1ELi1EvEELb0ELb0EEEvPKT0_S3B_T1_PT2_T3_T4_T5_iT6_T7_T8_T9_T10_T11_.has_recursion, 0
	.set _ZN2ck16tensor_operation6device12_GLOBAL__N_137kernel_grouped_conv_fwd_dl_multiple_dINS_32GridwiseGemmDlMultipleD_km_kn_mnILi256EDF16_fNS_5TupleIJDF16_EEEDF16_NS0_12element_wise11PassThroughES8_NS7_7AddReluELNS_25InMemoryDataOperationEnumE0ENS_16TensorDescriptorINS5_IJNS_5EmbedINS5_IJiiiiEEESD_Lb0EEENS_11PassThroughIiEENS_3PadIiiiLb0EEESI_SG_SG_NSC_INS5_IJiiEEESJ_Lb0EEESK_SG_NS_23Merge_v2_magic_divisionINS5_IJiiiEEEEESN_NS_8RightPadIiiLb0EEESP_NS_7UnMergeISJ_Lb0EEESG_EEENS5_IJNS_8SequenceIJLi0EEEENST_IJLi1EEEENST_IJLi2EEEENST_IJLi3EEEENST_IJLi4EEEENST_IJLi5EEEENST_IJLi6EEEENST_IJLi7EEEENST_IJLi8EEEENST_IJLi9ELi11ELi13EEEENST_IJLi10ELi12ELi14EEEENST_IJLi15EEEENST_IJLi16EEEENST_IJLi18EEEENST_IJLi17EEEEEEENS5_IJNST_IJLi1ELi2ELi3ELi4EEEESZ_S10_S11_S12_NST_IJLi9EEEENST_IJLi10ELi11EEEENST_IJLi12ELi13EEEENST_IJLi14EEEES15_S16_S18_S17_NST_IJLi19ELi20EEEENST_IJLi21EEEEEEENST_IJLi19ELi21ELi20EEEElEENSB_INS5_IJSR_SP_SP_SR_SG_EEENS5_IJSU_SV_SW_SY_SX_EEENS5_IJNST_IJLi1ELi2EEEESX_SY_NST_IJLi5ELi6EEEES11_EEENST_IJLi5ELi7ELi6EEEElEENSB_INS5_IJSK_SP_SP_EEENS5_IJSU_SV_SW_EEENS5_IJS1M_SX_SY_EEENST_IJLi3ELi4EEEElEELi128ELi128ELi16ELi2ELi4ELi4ELi1ENST_IJLi8ELi2EEEES1W_NST_IJLi8ELi1ELi1ELi2EEEENST_IJLi2ELi1ELi128ELi1EEEENST_IJLi1ELi2ELi0ELi3EEEES1Z_NST_IJLi4ELi1ELi1ELi2EEEES1Z_NST_IJLi1ELi1ELi1ELi2EEEES1X_S1Y_S1Z_S1Z_S20_S1Z_S21_NST_IJLi0ELi1ELi2ELi3ELi4ELi5EEEELi5ELi4EEEDF16_NS5_IJPKDF16_EEEDF16_S8_S8_S9_NSB_INS5_IJSE_SG_SI_SI_SG_SG_SK_SK_SG_SN_SN_SP_SP_SR_SG_SG_NSQ_INS5_IJiNS_17integral_constantIiLi128EEEEEELb0EEENSF_INS27_IiLi2EEEEEEEENS5_IJSU_SV_SW_SX_SY_SZ_S10_S11_S12_S13_S14_S15_S16_S17_S18_NST_IJLi19EEEES1G_NST_IJLi20EEEEEEENS5_IJS1A_SZ_S10_S11_S12_S1B_S1C_S1D_S1E_S15_S16_S18_S17_S1F_S1G_NST_IJLi22EEEENST_IJLi23ELi24EEEENST_IJLi25EEEEEEENST_IJLi22ELi23ELi24ELi25EEEElEENSB_INS5_IJSR_SP_SP_SR_SG_SG_S2A_S2C_EEENS5_IJSU_SV_SW_SY_SX_SZ_S11_S10_EEENS5_IJS1M_SX_SY_S1N_S11_S12_NST_IJLi9ELi10EEEENST_IJLi11EEEEEEENST_IJLi8ELi9ELi10ELi11EEEElEENS5_IJNSB_INS5_IJSK_SP_SP_NSQ_INS5_IJiS2B_NS27_IiLi64EEEEEELb0EEES2W_EEENS5_IJSU_SV_SW_SX_SY_EEENS5_IJS1M_SX_SY_NST_IJLi5ELi6ELi7EEEENST_IJLi8ELi9ELi10EEEEEEENST_IJLi5ELi6ELi7ELi8ELi9ELi10EEEElEEEEES33_NS_31BlockToCTileMap_M00_N00_M01_N01ILi128ELi128ES1V_Lb0EEENS1_30ComputePtrOffsetOfStridedBatchILi1ELi1ELi1EvEELb0ELb0EEEvPKT0_S3B_T1_PT2_T3_T4_T5_iT6_T7_T8_T9_T10_T11_.has_indirect_call, 0
	.section	.AMDGPU.csdata,"",@progbits
; Kernel info:
; codeLenInByte = 9644
; TotalNumSgprs: 61
; NumVgprs: 124
; ScratchSize: 0
; MemoryBound: 0
; FloatMode: 240
; IeeeMode: 1
; LDSByteSize: 32768 bytes/workgroup (compile time only)
; SGPRBlocks: 0
; VGPRBlocks: 15
; NumSGPRsForWavesPerEU: 61
; NumVGPRsForWavesPerEU: 124
; Occupancy: 8
; WaveLimiterHint : 0
; COMPUTE_PGM_RSRC2:SCRATCH_EN: 0
; COMPUTE_PGM_RSRC2:USER_SGPR: 6
; COMPUTE_PGM_RSRC2:TRAP_HANDLER: 0
; COMPUTE_PGM_RSRC2:TGID_X_EN: 1
; COMPUTE_PGM_RSRC2:TGID_Y_EN: 0
; COMPUTE_PGM_RSRC2:TGID_Z_EN: 0
; COMPUTE_PGM_RSRC2:TIDIG_COMP_CNT: 0
	.section	.text._ZN2ck16tensor_operation6device12_GLOBAL__N_137kernel_grouped_conv_fwd_dl_multiple_dINS_32GridwiseGemmDlMultipleD_km_kn_mnILi256EDF16_fNS_5TupleIJDF16_EEEDF16_NS0_12element_wise11PassThroughES8_NS7_7AddReluELNS_25InMemoryDataOperationEnumE0ENS_16TensorDescriptorINS5_IJNS_5EmbedINS5_IJiiiiiEEESD_Lb0EEENS_11PassThroughIiEENS_3PadIiiiLb0EEESI_SI_SG_SG_NSC_INS5_IJiiEEESJ_Lb0EEESK_SK_SG_NS_23Merge_v2_magic_divisionINS5_IJiiiiEEEEESN_NS_8RightPadIiiLb0EEESP_NS_7UnMergeISJ_Lb0EEESG_EEENS5_IJNS_8SequenceIJLi0EEEENST_IJLi1EEEENST_IJLi2EEEENST_IJLi3EEEENST_IJLi4EEEENST_IJLi5EEEENST_IJLi6EEEENST_IJLi7EEEENST_IJLi8EEEENST_IJLi9EEEENST_IJLi10EEEENST_IJLi11ELi13ELi15ELi17EEEENST_IJLi12ELi14ELi16ELi18EEEENST_IJLi19EEEENST_IJLi20EEEENST_IJLi22EEEENST_IJLi21EEEEEEENS5_IJNST_IJLi1ELi2ELi3ELi4ELi5EEEES10_S11_S12_S13_S14_NST_IJLi11EEEENST_IJLi12ELi13EEEENST_IJLi14ELi15EEEENST_IJLi16ELi17EEEENST_IJLi18EEEES17_S18_S1A_S19_NST_IJLi23ELi24EEEENST_IJLi25EEEEEEENST_IJLi23ELi25ELi24EEEElEENSB_INS5_IJSR_SP_SP_SR_SG_EEENS5_IJSU_SV_SW_SY_SX_EEENS5_IJNST_IJLi1ELi2EEEESX_SY_NST_IJLi5ELi6EEEES11_EEENST_IJLi5ELi7ELi6EEEElEENSB_INS5_IJSK_SP_SP_EEENS5_IJSU_SV_SW_EEENS5_IJS1P_SX_SY_EEENST_IJLi3ELi4EEEElEELi128ELi128ELi16ELi2ELi4ELi4ELi1ENST_IJLi8ELi2EEEES1Z_NST_IJLi8ELi1ELi1ELi2EEEENST_IJLi2ELi1ELi128ELi1EEEENST_IJLi1ELi2ELi0ELi3EEEES22_NST_IJLi4ELi1ELi1ELi2EEEES22_NST_IJLi1ELi1ELi1ELi2EEEES20_S21_S22_S22_S23_S22_S24_NST_IJLi0ELi1ELi2ELi3ELi4ELi5EEEELi5ELi4EEEDF16_NS5_IJPKDF16_EEEDF16_S8_S8_S9_NSB_INS5_IJSE_SG_SI_SI_SI_SG_SG_SK_SK_SK_SG_SN_SN_SP_SP_SR_SG_SG_NSQ_INS5_IJiNS_17integral_constantIiLi128EEEEEELb0EEENSF_INS2A_IiLi2EEEEEEEENS5_IJSU_SV_SW_SX_SY_SZ_S10_S11_S12_S13_S14_S15_S16_S17_S18_S19_S1A_NST_IJLi23EEEES1J_NST_IJLi24EEEEEEENS5_IJS1C_S10_S11_S12_S13_S14_S1D_S1E_S1F_S1G_S1H_S17_S18_S1A_S19_S1I_S1J_NST_IJLi26EEEENST_IJLi27ELi28EEEENST_IJLi29EEEEEEENST_IJLi26ELi27ELi28ELi29EEEElEENSB_INS5_IJSR_SP_SP_SR_SG_SG_S2D_S2F_EEENS5_IJSU_SV_SW_SY_SX_SZ_S11_S10_EEENS5_IJS1P_SX_SY_S1Q_S11_S12_NST_IJLi9ELi10EEEES1D_EEENST_IJLi8ELi9ELi10ELi11EEEElEENS5_IJNSB_INS5_IJSK_SP_SP_NSQ_INS5_IJiS2E_NS2A_IiLi64EEEEEELb0EEES2Y_EEENS5_IJSU_SV_SW_SX_SY_EEENS5_IJS1P_SX_SY_NST_IJLi5ELi6ELi7EEEENST_IJLi8ELi9ELi10EEEEEEENST_IJLi5ELi6ELi7ELi8ELi9ELi10EEEElEEEEES35_NS_31BlockToCTileMap_M00_N00_M01_N01ILi128ELi128ES1Y_Lb0EEENS1_30ComputePtrOffsetOfStridedBatchILi1ELi1ELi1EvEELb1ELb1EEEvPKT0_S3D_T1_PT2_T3_T4_T5_iT6_T7_T8_T9_T10_T11_,"axG",@progbits,_ZN2ck16tensor_operation6device12_GLOBAL__N_137kernel_grouped_conv_fwd_dl_multiple_dINS_32GridwiseGemmDlMultipleD_km_kn_mnILi256EDF16_fNS_5TupleIJDF16_EEEDF16_NS0_12element_wise11PassThroughES8_NS7_7AddReluELNS_25InMemoryDataOperationEnumE0ENS_16TensorDescriptorINS5_IJNS_5EmbedINS5_IJiiiiiEEESD_Lb0EEENS_11PassThroughIiEENS_3PadIiiiLb0EEESI_SI_SG_SG_NSC_INS5_IJiiEEESJ_Lb0EEESK_SK_SG_NS_23Merge_v2_magic_divisionINS5_IJiiiiEEEEESN_NS_8RightPadIiiLb0EEESP_NS_7UnMergeISJ_Lb0EEESG_EEENS5_IJNS_8SequenceIJLi0EEEENST_IJLi1EEEENST_IJLi2EEEENST_IJLi3EEEENST_IJLi4EEEENST_IJLi5EEEENST_IJLi6EEEENST_IJLi7EEEENST_IJLi8EEEENST_IJLi9EEEENST_IJLi10EEEENST_IJLi11ELi13ELi15ELi17EEEENST_IJLi12ELi14ELi16ELi18EEEENST_IJLi19EEEENST_IJLi20EEEENST_IJLi22EEEENST_IJLi21EEEEEEENS5_IJNST_IJLi1ELi2ELi3ELi4ELi5EEEES10_S11_S12_S13_S14_NST_IJLi11EEEENST_IJLi12ELi13EEEENST_IJLi14ELi15EEEENST_IJLi16ELi17EEEENST_IJLi18EEEES17_S18_S1A_S19_NST_IJLi23ELi24EEEENST_IJLi25EEEEEEENST_IJLi23ELi25ELi24EEEElEENSB_INS5_IJSR_SP_SP_SR_SG_EEENS5_IJSU_SV_SW_SY_SX_EEENS5_IJNST_IJLi1ELi2EEEESX_SY_NST_IJLi5ELi6EEEES11_EEENST_IJLi5ELi7ELi6EEEElEENSB_INS5_IJSK_SP_SP_EEENS5_IJSU_SV_SW_EEENS5_IJS1P_SX_SY_EEENST_IJLi3ELi4EEEElEELi128ELi128ELi16ELi2ELi4ELi4ELi1ENST_IJLi8ELi2EEEES1Z_NST_IJLi8ELi1ELi1ELi2EEEENST_IJLi2ELi1ELi128ELi1EEEENST_IJLi1ELi2ELi0ELi3EEEES22_NST_IJLi4ELi1ELi1ELi2EEEES22_NST_IJLi1ELi1ELi1ELi2EEEES20_S21_S22_S22_S23_S22_S24_NST_IJLi0ELi1ELi2ELi3ELi4ELi5EEEELi5ELi4EEEDF16_NS5_IJPKDF16_EEEDF16_S8_S8_S9_NSB_INS5_IJSE_SG_SI_SI_SI_SG_SG_SK_SK_SK_SG_SN_SN_SP_SP_SR_SG_SG_NSQ_INS5_IJiNS_17integral_constantIiLi128EEEEEELb0EEENSF_INS2A_IiLi2EEEEEEEENS5_IJSU_SV_SW_SX_SY_SZ_S10_S11_S12_S13_S14_S15_S16_S17_S18_S19_S1A_NST_IJLi23EEEES1J_NST_IJLi24EEEEEEENS5_IJS1C_S10_S11_S12_S13_S14_S1D_S1E_S1F_S1G_S1H_S17_S18_S1A_S19_S1I_S1J_NST_IJLi26EEEENST_IJLi27ELi28EEEENST_IJLi29EEEEEEENST_IJLi26ELi27ELi28ELi29EEEElEENSB_INS5_IJSR_SP_SP_SR_SG_SG_S2D_S2F_EEENS5_IJSU_SV_SW_SY_SX_SZ_S11_S10_EEENS5_IJS1P_SX_SY_S1Q_S11_S12_NST_IJLi9ELi10EEEES1D_EEENST_IJLi8ELi9ELi10ELi11EEEElEENS5_IJNSB_INS5_IJSK_SP_SP_NSQ_INS5_IJiS2E_NS2A_IiLi64EEEEEELb0EEES2Y_EEENS5_IJSU_SV_SW_SX_SY_EEENS5_IJS1P_SX_SY_NST_IJLi5ELi6ELi7EEEENST_IJLi8ELi9ELi10EEEEEEENST_IJLi5ELi6ELi7ELi8ELi9ELi10EEEElEEEEES35_NS_31BlockToCTileMap_M00_N00_M01_N01ILi128ELi128ES1Y_Lb0EEENS1_30ComputePtrOffsetOfStridedBatchILi1ELi1ELi1EvEELb1ELb1EEEvPKT0_S3D_T1_PT2_T3_T4_T5_iT6_T7_T8_T9_T10_T11_,comdat
	.globl	_ZN2ck16tensor_operation6device12_GLOBAL__N_137kernel_grouped_conv_fwd_dl_multiple_dINS_32GridwiseGemmDlMultipleD_km_kn_mnILi256EDF16_fNS_5TupleIJDF16_EEEDF16_NS0_12element_wise11PassThroughES8_NS7_7AddReluELNS_25InMemoryDataOperationEnumE0ENS_16TensorDescriptorINS5_IJNS_5EmbedINS5_IJiiiiiEEESD_Lb0EEENS_11PassThroughIiEENS_3PadIiiiLb0EEESI_SI_SG_SG_NSC_INS5_IJiiEEESJ_Lb0EEESK_SK_SG_NS_23Merge_v2_magic_divisionINS5_IJiiiiEEEEESN_NS_8RightPadIiiLb0EEESP_NS_7UnMergeISJ_Lb0EEESG_EEENS5_IJNS_8SequenceIJLi0EEEENST_IJLi1EEEENST_IJLi2EEEENST_IJLi3EEEENST_IJLi4EEEENST_IJLi5EEEENST_IJLi6EEEENST_IJLi7EEEENST_IJLi8EEEENST_IJLi9EEEENST_IJLi10EEEENST_IJLi11ELi13ELi15ELi17EEEENST_IJLi12ELi14ELi16ELi18EEEENST_IJLi19EEEENST_IJLi20EEEENST_IJLi22EEEENST_IJLi21EEEEEEENS5_IJNST_IJLi1ELi2ELi3ELi4ELi5EEEES10_S11_S12_S13_S14_NST_IJLi11EEEENST_IJLi12ELi13EEEENST_IJLi14ELi15EEEENST_IJLi16ELi17EEEENST_IJLi18EEEES17_S18_S1A_S19_NST_IJLi23ELi24EEEENST_IJLi25EEEEEEENST_IJLi23ELi25ELi24EEEElEENSB_INS5_IJSR_SP_SP_SR_SG_EEENS5_IJSU_SV_SW_SY_SX_EEENS5_IJNST_IJLi1ELi2EEEESX_SY_NST_IJLi5ELi6EEEES11_EEENST_IJLi5ELi7ELi6EEEElEENSB_INS5_IJSK_SP_SP_EEENS5_IJSU_SV_SW_EEENS5_IJS1P_SX_SY_EEENST_IJLi3ELi4EEEElEELi128ELi128ELi16ELi2ELi4ELi4ELi1ENST_IJLi8ELi2EEEES1Z_NST_IJLi8ELi1ELi1ELi2EEEENST_IJLi2ELi1ELi128ELi1EEEENST_IJLi1ELi2ELi0ELi3EEEES22_NST_IJLi4ELi1ELi1ELi2EEEES22_NST_IJLi1ELi1ELi1ELi2EEEES20_S21_S22_S22_S23_S22_S24_NST_IJLi0ELi1ELi2ELi3ELi4ELi5EEEELi5ELi4EEEDF16_NS5_IJPKDF16_EEEDF16_S8_S8_S9_NSB_INS5_IJSE_SG_SI_SI_SI_SG_SG_SK_SK_SK_SG_SN_SN_SP_SP_SR_SG_SG_NSQ_INS5_IJiNS_17integral_constantIiLi128EEEEEELb0EEENSF_INS2A_IiLi2EEEEEEEENS5_IJSU_SV_SW_SX_SY_SZ_S10_S11_S12_S13_S14_S15_S16_S17_S18_S19_S1A_NST_IJLi23EEEES1J_NST_IJLi24EEEEEEENS5_IJS1C_S10_S11_S12_S13_S14_S1D_S1E_S1F_S1G_S1H_S17_S18_S1A_S19_S1I_S1J_NST_IJLi26EEEENST_IJLi27ELi28EEEENST_IJLi29EEEEEEENST_IJLi26ELi27ELi28ELi29EEEElEENSB_INS5_IJSR_SP_SP_SR_SG_SG_S2D_S2F_EEENS5_IJSU_SV_SW_SY_SX_SZ_S11_S10_EEENS5_IJS1P_SX_SY_S1Q_S11_S12_NST_IJLi9ELi10EEEES1D_EEENST_IJLi8ELi9ELi10ELi11EEEElEENS5_IJNSB_INS5_IJSK_SP_SP_NSQ_INS5_IJiS2E_NS2A_IiLi64EEEEEELb0EEES2Y_EEENS5_IJSU_SV_SW_SX_SY_EEENS5_IJS1P_SX_SY_NST_IJLi5ELi6ELi7EEEENST_IJLi8ELi9ELi10EEEEEEENST_IJLi5ELi6ELi7ELi8ELi9ELi10EEEElEEEEES35_NS_31BlockToCTileMap_M00_N00_M01_N01ILi128ELi128ES1Y_Lb0EEENS1_30ComputePtrOffsetOfStridedBatchILi1ELi1ELi1EvEELb1ELb1EEEvPKT0_S3D_T1_PT2_T3_T4_T5_iT6_T7_T8_T9_T10_T11_ ; -- Begin function _ZN2ck16tensor_operation6device12_GLOBAL__N_137kernel_grouped_conv_fwd_dl_multiple_dINS_32GridwiseGemmDlMultipleD_km_kn_mnILi256EDF16_fNS_5TupleIJDF16_EEEDF16_NS0_12element_wise11PassThroughES8_NS7_7AddReluELNS_25InMemoryDataOperationEnumE0ENS_16TensorDescriptorINS5_IJNS_5EmbedINS5_IJiiiiiEEESD_Lb0EEENS_11PassThroughIiEENS_3PadIiiiLb0EEESI_SI_SG_SG_NSC_INS5_IJiiEEESJ_Lb0EEESK_SK_SG_NS_23Merge_v2_magic_divisionINS5_IJiiiiEEEEESN_NS_8RightPadIiiLb0EEESP_NS_7UnMergeISJ_Lb0EEESG_EEENS5_IJNS_8SequenceIJLi0EEEENST_IJLi1EEEENST_IJLi2EEEENST_IJLi3EEEENST_IJLi4EEEENST_IJLi5EEEENST_IJLi6EEEENST_IJLi7EEEENST_IJLi8EEEENST_IJLi9EEEENST_IJLi10EEEENST_IJLi11ELi13ELi15ELi17EEEENST_IJLi12ELi14ELi16ELi18EEEENST_IJLi19EEEENST_IJLi20EEEENST_IJLi22EEEENST_IJLi21EEEEEEENS5_IJNST_IJLi1ELi2ELi3ELi4ELi5EEEES10_S11_S12_S13_S14_NST_IJLi11EEEENST_IJLi12ELi13EEEENST_IJLi14ELi15EEEENST_IJLi16ELi17EEEENST_IJLi18EEEES17_S18_S1A_S19_NST_IJLi23ELi24EEEENST_IJLi25EEEEEEENST_IJLi23ELi25ELi24EEEElEENSB_INS5_IJSR_SP_SP_SR_SG_EEENS5_IJSU_SV_SW_SY_SX_EEENS5_IJNST_IJLi1ELi2EEEESX_SY_NST_IJLi5ELi6EEEES11_EEENST_IJLi5ELi7ELi6EEEElEENSB_INS5_IJSK_SP_SP_EEENS5_IJSU_SV_SW_EEENS5_IJS1P_SX_SY_EEENST_IJLi3ELi4EEEElEELi128ELi128ELi16ELi2ELi4ELi4ELi1ENST_IJLi8ELi2EEEES1Z_NST_IJLi8ELi1ELi1ELi2EEEENST_IJLi2ELi1ELi128ELi1EEEENST_IJLi1ELi2ELi0ELi3EEEES22_NST_IJLi4ELi1ELi1ELi2EEEES22_NST_IJLi1ELi1ELi1ELi2EEEES20_S21_S22_S22_S23_S22_S24_NST_IJLi0ELi1ELi2ELi3ELi4ELi5EEEELi5ELi4EEEDF16_NS5_IJPKDF16_EEEDF16_S8_S8_S9_NSB_INS5_IJSE_SG_SI_SI_SI_SG_SG_SK_SK_SK_SG_SN_SN_SP_SP_SR_SG_SG_NSQ_INS5_IJiNS_17integral_constantIiLi128EEEEEELb0EEENSF_INS2A_IiLi2EEEEEEEENS5_IJSU_SV_SW_SX_SY_SZ_S10_S11_S12_S13_S14_S15_S16_S17_S18_S19_S1A_NST_IJLi23EEEES1J_NST_IJLi24EEEEEEENS5_IJS1C_S10_S11_S12_S13_S14_S1D_S1E_S1F_S1G_S1H_S17_S18_S1A_S19_S1I_S1J_NST_IJLi26EEEENST_IJLi27ELi28EEEENST_IJLi29EEEEEEENST_IJLi26ELi27ELi28ELi29EEEElEENSB_INS5_IJSR_SP_SP_SR_SG_SG_S2D_S2F_EEENS5_IJSU_SV_SW_SY_SX_SZ_S11_S10_EEENS5_IJS1P_SX_SY_S1Q_S11_S12_NST_IJLi9ELi10EEEES1D_EEENST_IJLi8ELi9ELi10ELi11EEEElEENS5_IJNSB_INS5_IJSK_SP_SP_NSQ_INS5_IJiS2E_NS2A_IiLi64EEEEEELb0EEES2Y_EEENS5_IJSU_SV_SW_SX_SY_EEENS5_IJS1P_SX_SY_NST_IJLi5ELi6ELi7EEEENST_IJLi8ELi9ELi10EEEEEEENST_IJLi5ELi6ELi7ELi8ELi9ELi10EEEElEEEEES35_NS_31BlockToCTileMap_M00_N00_M01_N01ILi128ELi128ES1Y_Lb0EEENS1_30ComputePtrOffsetOfStridedBatchILi1ELi1ELi1EvEELb1ELb1EEEvPKT0_S3D_T1_PT2_T3_T4_T5_iT6_T7_T8_T9_T10_T11_
	.p2align	8
	.type	_ZN2ck16tensor_operation6device12_GLOBAL__N_137kernel_grouped_conv_fwd_dl_multiple_dINS_32GridwiseGemmDlMultipleD_km_kn_mnILi256EDF16_fNS_5TupleIJDF16_EEEDF16_NS0_12element_wise11PassThroughES8_NS7_7AddReluELNS_25InMemoryDataOperationEnumE0ENS_16TensorDescriptorINS5_IJNS_5EmbedINS5_IJiiiiiEEESD_Lb0EEENS_11PassThroughIiEENS_3PadIiiiLb0EEESI_SI_SG_SG_NSC_INS5_IJiiEEESJ_Lb0EEESK_SK_SG_NS_23Merge_v2_magic_divisionINS5_IJiiiiEEEEESN_NS_8RightPadIiiLb0EEESP_NS_7UnMergeISJ_Lb0EEESG_EEENS5_IJNS_8SequenceIJLi0EEEENST_IJLi1EEEENST_IJLi2EEEENST_IJLi3EEEENST_IJLi4EEEENST_IJLi5EEEENST_IJLi6EEEENST_IJLi7EEEENST_IJLi8EEEENST_IJLi9EEEENST_IJLi10EEEENST_IJLi11ELi13ELi15ELi17EEEENST_IJLi12ELi14ELi16ELi18EEEENST_IJLi19EEEENST_IJLi20EEEENST_IJLi22EEEENST_IJLi21EEEEEEENS5_IJNST_IJLi1ELi2ELi3ELi4ELi5EEEES10_S11_S12_S13_S14_NST_IJLi11EEEENST_IJLi12ELi13EEEENST_IJLi14ELi15EEEENST_IJLi16ELi17EEEENST_IJLi18EEEES17_S18_S1A_S19_NST_IJLi23ELi24EEEENST_IJLi25EEEEEEENST_IJLi23ELi25ELi24EEEElEENSB_INS5_IJSR_SP_SP_SR_SG_EEENS5_IJSU_SV_SW_SY_SX_EEENS5_IJNST_IJLi1ELi2EEEESX_SY_NST_IJLi5ELi6EEEES11_EEENST_IJLi5ELi7ELi6EEEElEENSB_INS5_IJSK_SP_SP_EEENS5_IJSU_SV_SW_EEENS5_IJS1P_SX_SY_EEENST_IJLi3ELi4EEEElEELi128ELi128ELi16ELi2ELi4ELi4ELi1ENST_IJLi8ELi2EEEES1Z_NST_IJLi8ELi1ELi1ELi2EEEENST_IJLi2ELi1ELi128ELi1EEEENST_IJLi1ELi2ELi0ELi3EEEES22_NST_IJLi4ELi1ELi1ELi2EEEES22_NST_IJLi1ELi1ELi1ELi2EEEES20_S21_S22_S22_S23_S22_S24_NST_IJLi0ELi1ELi2ELi3ELi4ELi5EEEELi5ELi4EEEDF16_NS5_IJPKDF16_EEEDF16_S8_S8_S9_NSB_INS5_IJSE_SG_SI_SI_SI_SG_SG_SK_SK_SK_SG_SN_SN_SP_SP_SR_SG_SG_NSQ_INS5_IJiNS_17integral_constantIiLi128EEEEEELb0EEENSF_INS2A_IiLi2EEEEEEEENS5_IJSU_SV_SW_SX_SY_SZ_S10_S11_S12_S13_S14_S15_S16_S17_S18_S19_S1A_NST_IJLi23EEEES1J_NST_IJLi24EEEEEEENS5_IJS1C_S10_S11_S12_S13_S14_S1D_S1E_S1F_S1G_S1H_S17_S18_S1A_S19_S1I_S1J_NST_IJLi26EEEENST_IJLi27ELi28EEEENST_IJLi29EEEEEEENST_IJLi26ELi27ELi28ELi29EEEElEENSB_INS5_IJSR_SP_SP_SR_SG_SG_S2D_S2F_EEENS5_IJSU_SV_SW_SY_SX_SZ_S11_S10_EEENS5_IJS1P_SX_SY_S1Q_S11_S12_NST_IJLi9ELi10EEEES1D_EEENST_IJLi8ELi9ELi10ELi11EEEElEENS5_IJNSB_INS5_IJSK_SP_SP_NSQ_INS5_IJiS2E_NS2A_IiLi64EEEEEELb0EEES2Y_EEENS5_IJSU_SV_SW_SX_SY_EEENS5_IJS1P_SX_SY_NST_IJLi5ELi6ELi7EEEENST_IJLi8ELi9ELi10EEEEEEENST_IJLi5ELi6ELi7ELi8ELi9ELi10EEEElEEEEES35_NS_31BlockToCTileMap_M00_N00_M01_N01ILi128ELi128ES1Y_Lb0EEENS1_30ComputePtrOffsetOfStridedBatchILi1ELi1ELi1EvEELb1ELb1EEEvPKT0_S3D_T1_PT2_T3_T4_T5_iT6_T7_T8_T9_T10_T11_,@function
_ZN2ck16tensor_operation6device12_GLOBAL__N_137kernel_grouped_conv_fwd_dl_multiple_dINS_32GridwiseGemmDlMultipleD_km_kn_mnILi256EDF16_fNS_5TupleIJDF16_EEEDF16_NS0_12element_wise11PassThroughES8_NS7_7AddReluELNS_25InMemoryDataOperationEnumE0ENS_16TensorDescriptorINS5_IJNS_5EmbedINS5_IJiiiiiEEESD_Lb0EEENS_11PassThroughIiEENS_3PadIiiiLb0EEESI_SI_SG_SG_NSC_INS5_IJiiEEESJ_Lb0EEESK_SK_SG_NS_23Merge_v2_magic_divisionINS5_IJiiiiEEEEESN_NS_8RightPadIiiLb0EEESP_NS_7UnMergeISJ_Lb0EEESG_EEENS5_IJNS_8SequenceIJLi0EEEENST_IJLi1EEEENST_IJLi2EEEENST_IJLi3EEEENST_IJLi4EEEENST_IJLi5EEEENST_IJLi6EEEENST_IJLi7EEEENST_IJLi8EEEENST_IJLi9EEEENST_IJLi10EEEENST_IJLi11ELi13ELi15ELi17EEEENST_IJLi12ELi14ELi16ELi18EEEENST_IJLi19EEEENST_IJLi20EEEENST_IJLi22EEEENST_IJLi21EEEEEEENS5_IJNST_IJLi1ELi2ELi3ELi4ELi5EEEES10_S11_S12_S13_S14_NST_IJLi11EEEENST_IJLi12ELi13EEEENST_IJLi14ELi15EEEENST_IJLi16ELi17EEEENST_IJLi18EEEES17_S18_S1A_S19_NST_IJLi23ELi24EEEENST_IJLi25EEEEEEENST_IJLi23ELi25ELi24EEEElEENSB_INS5_IJSR_SP_SP_SR_SG_EEENS5_IJSU_SV_SW_SY_SX_EEENS5_IJNST_IJLi1ELi2EEEESX_SY_NST_IJLi5ELi6EEEES11_EEENST_IJLi5ELi7ELi6EEEElEENSB_INS5_IJSK_SP_SP_EEENS5_IJSU_SV_SW_EEENS5_IJS1P_SX_SY_EEENST_IJLi3ELi4EEEElEELi128ELi128ELi16ELi2ELi4ELi4ELi1ENST_IJLi8ELi2EEEES1Z_NST_IJLi8ELi1ELi1ELi2EEEENST_IJLi2ELi1ELi128ELi1EEEENST_IJLi1ELi2ELi0ELi3EEEES22_NST_IJLi4ELi1ELi1ELi2EEEES22_NST_IJLi1ELi1ELi1ELi2EEEES20_S21_S22_S22_S23_S22_S24_NST_IJLi0ELi1ELi2ELi3ELi4ELi5EEEELi5ELi4EEEDF16_NS5_IJPKDF16_EEEDF16_S8_S8_S9_NSB_INS5_IJSE_SG_SI_SI_SI_SG_SG_SK_SK_SK_SG_SN_SN_SP_SP_SR_SG_SG_NSQ_INS5_IJiNS_17integral_constantIiLi128EEEEEELb0EEENSF_INS2A_IiLi2EEEEEEEENS5_IJSU_SV_SW_SX_SY_SZ_S10_S11_S12_S13_S14_S15_S16_S17_S18_S19_S1A_NST_IJLi23EEEES1J_NST_IJLi24EEEEEEENS5_IJS1C_S10_S11_S12_S13_S14_S1D_S1E_S1F_S1G_S1H_S17_S18_S1A_S19_S1I_S1J_NST_IJLi26EEEENST_IJLi27ELi28EEEENST_IJLi29EEEEEEENST_IJLi26ELi27ELi28ELi29EEEElEENSB_INS5_IJSR_SP_SP_SR_SG_SG_S2D_S2F_EEENS5_IJSU_SV_SW_SY_SX_SZ_S11_S10_EEENS5_IJS1P_SX_SY_S1Q_S11_S12_NST_IJLi9ELi10EEEES1D_EEENST_IJLi8ELi9ELi10ELi11EEEElEENS5_IJNSB_INS5_IJSK_SP_SP_NSQ_INS5_IJiS2E_NS2A_IiLi64EEEEEELb0EEES2Y_EEENS5_IJSU_SV_SW_SX_SY_EEENS5_IJS1P_SX_SY_NST_IJLi5ELi6ELi7EEEENST_IJLi8ELi9ELi10EEEEEEENST_IJLi5ELi6ELi7ELi8ELi9ELi10EEEElEEEEES35_NS_31BlockToCTileMap_M00_N00_M01_N01ILi128ELi128ES1Y_Lb0EEENS1_30ComputePtrOffsetOfStridedBatchILi1ELi1ELi1EvEELb1ELb1EEEvPKT0_S3D_T1_PT2_T3_T4_T5_iT6_T7_T8_T9_T10_T11_: ; @_ZN2ck16tensor_operation6device12_GLOBAL__N_137kernel_grouped_conv_fwd_dl_multiple_dINS_32GridwiseGemmDlMultipleD_km_kn_mnILi256EDF16_fNS_5TupleIJDF16_EEEDF16_NS0_12element_wise11PassThroughES8_NS7_7AddReluELNS_25InMemoryDataOperationEnumE0ENS_16TensorDescriptorINS5_IJNS_5EmbedINS5_IJiiiiiEEESD_Lb0EEENS_11PassThroughIiEENS_3PadIiiiLb0EEESI_SI_SG_SG_NSC_INS5_IJiiEEESJ_Lb0EEESK_SK_SG_NS_23Merge_v2_magic_divisionINS5_IJiiiiEEEEESN_NS_8RightPadIiiLb0EEESP_NS_7UnMergeISJ_Lb0EEESG_EEENS5_IJNS_8SequenceIJLi0EEEENST_IJLi1EEEENST_IJLi2EEEENST_IJLi3EEEENST_IJLi4EEEENST_IJLi5EEEENST_IJLi6EEEENST_IJLi7EEEENST_IJLi8EEEENST_IJLi9EEEENST_IJLi10EEEENST_IJLi11ELi13ELi15ELi17EEEENST_IJLi12ELi14ELi16ELi18EEEENST_IJLi19EEEENST_IJLi20EEEENST_IJLi22EEEENST_IJLi21EEEEEEENS5_IJNST_IJLi1ELi2ELi3ELi4ELi5EEEES10_S11_S12_S13_S14_NST_IJLi11EEEENST_IJLi12ELi13EEEENST_IJLi14ELi15EEEENST_IJLi16ELi17EEEENST_IJLi18EEEES17_S18_S1A_S19_NST_IJLi23ELi24EEEENST_IJLi25EEEEEEENST_IJLi23ELi25ELi24EEEElEENSB_INS5_IJSR_SP_SP_SR_SG_EEENS5_IJSU_SV_SW_SY_SX_EEENS5_IJNST_IJLi1ELi2EEEESX_SY_NST_IJLi5ELi6EEEES11_EEENST_IJLi5ELi7ELi6EEEElEENSB_INS5_IJSK_SP_SP_EEENS5_IJSU_SV_SW_EEENS5_IJS1P_SX_SY_EEENST_IJLi3ELi4EEEElEELi128ELi128ELi16ELi2ELi4ELi4ELi1ENST_IJLi8ELi2EEEES1Z_NST_IJLi8ELi1ELi1ELi2EEEENST_IJLi2ELi1ELi128ELi1EEEENST_IJLi1ELi2ELi0ELi3EEEES22_NST_IJLi4ELi1ELi1ELi2EEEES22_NST_IJLi1ELi1ELi1ELi2EEEES20_S21_S22_S22_S23_S22_S24_NST_IJLi0ELi1ELi2ELi3ELi4ELi5EEEELi5ELi4EEEDF16_NS5_IJPKDF16_EEEDF16_S8_S8_S9_NSB_INS5_IJSE_SG_SI_SI_SI_SG_SG_SK_SK_SK_SG_SN_SN_SP_SP_SR_SG_SG_NSQ_INS5_IJiNS_17integral_constantIiLi128EEEEEELb0EEENSF_INS2A_IiLi2EEEEEEEENS5_IJSU_SV_SW_SX_SY_SZ_S10_S11_S12_S13_S14_S15_S16_S17_S18_S19_S1A_NST_IJLi23EEEES1J_NST_IJLi24EEEEEEENS5_IJS1C_S10_S11_S12_S13_S14_S1D_S1E_S1F_S1G_S1H_S17_S18_S1A_S19_S1I_S1J_NST_IJLi26EEEENST_IJLi27ELi28EEEENST_IJLi29EEEEEEENST_IJLi26ELi27ELi28ELi29EEEElEENSB_INS5_IJSR_SP_SP_SR_SG_SG_S2D_S2F_EEENS5_IJSU_SV_SW_SY_SX_SZ_S11_S10_EEENS5_IJS1P_SX_SY_S1Q_S11_S12_NST_IJLi9ELi10EEEES1D_EEENST_IJLi8ELi9ELi10ELi11EEEElEENS5_IJNSB_INS5_IJSK_SP_SP_NSQ_INS5_IJiS2E_NS2A_IiLi64EEEEEELb0EEES2Y_EEENS5_IJSU_SV_SW_SX_SY_EEENS5_IJS1P_SX_SY_NST_IJLi5ELi6ELi7EEEENST_IJLi8ELi9ELi10EEEEEEENST_IJLi5ELi6ELi7ELi8ELi9ELi10EEEElEEEEES35_NS_31BlockToCTileMap_M00_N00_M01_N01ILi128ELi128ES1Y_Lb0EEENS1_30ComputePtrOffsetOfStridedBatchILi1ELi1ELi1EvEELb1ELb1EEEvPKT0_S3D_T1_PT2_T3_T4_T5_iT6_T7_T8_T9_T10_T11_
; %bb.0:
	s_clause 0x7
	s_load_dword s0, s[4:5], 0x24
	s_load_dwordx4 s[28:31], s[4:5], 0x3c
	s_load_dword s70, s[4:5], 0x4c
	s_load_dword s2, s[4:5], 0x300
	s_load_dwordx8 s[20:27], s[4:5], 0x2d8
	s_load_dwordx4 s[36:39], s[4:5], 0x0
	s_load_dwordx2 s[66:67], s[4:5], 0x18
	s_load_dwordx8 s[12:19], s[4:5], 0xec
	v_lshrrev_b32_e32 v22, 1, v0
	s_load_dwordx4 s[60:63], s[4:5], 0xd8
	v_lshlrev_b32_e32 v89, 1, v0
	v_mov_b32_e32 v55, 0
	v_mov_b32_e32 v35, 0
	v_mov_b32_e32 v36, 0
	v_mov_b32_e32 v56, 0
	v_and_b32_e32 v91, 0x1f8, v89
	v_mov_b32_e32 v57, 0
	v_mov_b32_e32 v33, 0
	;; [unrolled: 1-line block ×5, first 2 shown]
	s_waitcnt lgkmcnt(0)
	s_abs_i32 s1, s0
	v_mov_b32_e32 v29, 0
	v_cvt_f32_u32_e32 v1, s1
	s_sub_i32 s7, 0, s1
	s_abs_i32 s8, s2
	s_xor_b32 s0, s2, s0
	v_mov_b32_e32 v30, 0
	v_rcp_iflag_f32_e32 v1, v1
	s_ashr_i32 s0, s0, 31
	v_mov_b32_e32 v63, 0
	v_mov_b32_e32 v65, 0
	;; [unrolled: 1-line block ×8, first 2 shown]
	v_mul_f32_e32 v1, 0x4f7ffffe, v1
	v_mov_b32_e32 v69, 0
	v_mov_b32_e32 v70, 0
	;; [unrolled: 1-line block ×4, first 2 shown]
	v_cvt_u32_f32_e32 v1, v1
	v_mov_b32_e32 v71, 0
	v_mov_b32_e32 v72, 0
	;; [unrolled: 1-line block ×4, first 2 shown]
	v_readfirstlane_b32 s3, v1
	v_mov_b32_e32 v73, 0
	v_mov_b32_e32 v74, 0
	;; [unrolled: 1-line block ×4, first 2 shown]
	s_mul_i32 s7, s7, s3
	v_mov_b32_e32 v75, 0
	s_mul_hi_u32 s7, s3, s7
	v_mov_b32_e32 v76, 0
	s_add_i32 s3, s3, s7
	v_mov_b32_e32 v46, 0
	s_mul_hi_u32 s3, s8, s3
	v_mov_b32_e32 v45, 0
	s_mul_i32 s2, s3, s1
	s_add_i32 s7, s3, 1
	s_sub_i32 s2, s8, s2
	v_mov_b32_e32 v77, 0
	s_sub_i32 s8, s2, s1
	s_cmp_ge_u32 s2, s1
	v_mov_b32_e32 v78, 0
	s_cselect_b32 s3, s7, s3
	s_cselect_b32 s2, s8, s2
	s_add_i32 s7, s3, 1
	s_cmp_ge_u32 s2, s1
	v_mov_b32_e32 v47, 0
	s_cselect_b32 s1, s7, s3
	s_abs_i32 s7, s6
	s_xor_b32 s1, s1, s0
	v_mov_b32_e32 v48, 0
	s_sub_i32 s0, s1, s0
	v_mov_b32_e32 v79, 0
	s_abs_i32 s1, s0
	s_xor_b32 s0, s6, s0
	v_cvt_f32_u32_e32 v1, s1
	s_sub_i32 s3, 0, s1
	s_ashr_i32 s8, s0, 31
	v_mov_b32_e32 v80, 0
	v_mov_b32_e32 v52, 0
	v_rcp_iflag_f32_e32 v1, v1
	v_mov_b32_e32 v51, 0
	v_mov_b32_e32 v81, 0
	;; [unrolled: 1-line block ×9, first 2 shown]
	v_mul_f32_e32 v1, 0x4f7ffffe, v1
	v_mov_b32_e32 v85, 0
	v_mov_b32_e32 v86, 0
	;; [unrolled: 1-line block ×4, first 2 shown]
	v_cvt_u32_f32_e32 v1, v1
	v_mov_b32_e32 v87, 0
	v_mov_b32_e32 v88, 0
	;; [unrolled: 1-line block ×4, first 2 shown]
	v_readfirstlane_b32 s2, v1
	v_lshlrev_b32_e32 v1, 3, v0
	v_mov_b32_e32 v40, 0
	v_mov_b32_e32 v64, 0
	;; [unrolled: 1-line block ×3, first 2 shown]
	s_mul_i32 s3, s3, s2
	v_and_b32_e32 v95, 8, v1
	s_mul_hi_u32 s3, s2, s3
	v_mov_b32_e32 v37, 0
	s_add_i32 s2, s2, s3
	v_mov_b32_e32 v38, 0
	s_mul_hi_u32 s2, s7, s2
	v_or_b32_e32 v1, 4, v95
	s_mul_i32 s3, s2, s1
	v_or_b32_e32 v103, 20, v95
	s_sub_i32 s0, s7, s3
	s_add_i32 s3, s2, 1
	s_sub_i32 s7, s0, s1
	s_cmp_ge_u32 s0, s1
	v_or_b32_e32 v102, 16, v95
	s_cselect_b32 s2, s3, s2
	s_cselect_b32 s0, s7, s0
	s_add_i32 s3, s2, 1
	s_cmp_ge_u32 s0, s1
	s_cselect_b32 s0, s3, s2
	s_xor_b32 s7, s0, s8
	s_clause 0x1
	s_load_dwordx4 s[0:3], s[4:5], 0x298
	s_load_dwordx4 s[52:55], s[4:5], 0x2ac
	s_sub_i32 s72, s7, s8
	s_load_dwordx4 s[8:11], s[4:5], 0x2c0
	s_ashr_i32 s73, s72, 31
	s_mul_hi_u32 s7, s20, s72
	s_mul_i32 s34, s20, s72
	s_mul_i32 s20, s20, s73
	;; [unrolled: 1-line block ×3, first 2 shown]
	s_add_i32 s7, s7, s20
	s_mul_hi_u32 s19, s22, s72
	s_mul_i32 s20, s22, s73
	s_add_i32 s35, s7, s15
	s_mul_i32 s23, s23, s72
	s_add_i32 s7, s19, s20
	s_lshl_b64 s[20:21], s[34:35], 1
	s_clause 0x1
	s_load_dword s74, s[4:5], 0x13c
	s_load_dwordx4 s[44:47], s[4:5], 0x10c
	s_mul_i32 s40, s22, s72
	s_add_i32 s41, s7, s23
	s_add_u32 s20, s36, s20
	s_addc_u32 s7, s37, s21
	s_lshl_b64 s[22:23], s[40:41], 1
	s_waitcnt lgkmcnt(0)
	s_mul_hi_u32 s19, s55, s6
	s_add_u32 s48, s38, s22
	s_addc_u32 s15, s39, s23
	s_add_i32 s19, s6, s19
	s_load_dwordx8 s[36:43], s[4:5], 0xb8
	s_lshr_b32 s33, s19, s11
	s_load_dword s11, s[4:5], 0x27c
	s_mul_hi_u32 s19, s33, s54
	s_clause 0x1
	s_load_dword s22, s[4:5], 0x28c
	s_load_dwordx2 s[64:65], s[4:5], 0x260
	s_add_i32 s19, s33, s19
	s_clause 0x1
	s_load_dword s77, s[4:5], 0x120
	s_load_dword s71, s[4:5], 0x12c
	s_lshr_b32 s21, s19, s10
	s_mov_b32 s23, 0x31014000
	s_mul_hi_u32 s10, s21, s53
	v_mul_lo_u32 v96, s74, v1
	s_add_i32 s10, s21, s10
	v_mul_lo_u32 v23, s74, v95
	s_lshr_b32 s34, s10, s9
	s_and_b32 s49, s15, 0xffff
	s_mul_hi_u32 s9, s34, s52
	s_waitcnt lgkmcnt(0)
	s_mov_b32 s39, s23
	s_add_i32 s9, s34, s9
	v_mul_hi_u32 v2, v96, s18
	s_lshr_b32 s8, s9, s8
	v_mul_hi_u32 v1, v23, s18
	s_mul_i32 s8, s8, s0
	s_mul_i32 s0, s21, s2
	s_sub_i32 s2, s34, s8
	s_sub_i32 s19, s33, s0
	s_mul_i32 s33, s33, s3
	v_add_nc_u32_e32 v2, v96, v2
	s_sub_i32 s47, s6, s33
	s_load_dword s6, s[4:5], 0x148
	s_mul_i32 s2, s2, s11
	v_add_nc_u32_e32 v1, v23, v1
	s_add_i32 s19, s19, s2
	v_lshrrev_b32_e32 v2, s46, v2
	v_lshl_or_b32 v24, s19, 7, v22
	s_clause 0x1
	s_load_dword s65, s[4:5], 0x58
	s_load_dwordx4 s[8:11], s[4:5], 0x54
	v_lshrrev_b32_e32 v1, s46, v1
	s_waitcnt lgkmcnt(0)
	s_clause 0x1
	s_load_dword s11, s[4:5], 0x64
	s_load_dwordx4 s[52:55], s[4:5], 0x60
	v_mul_hi_u32 v5, v2, s17
	v_mul_hi_u32 v3, v24, s42
	v_mul_lo_u32 v8, v2, s14
	v_mul_hi_u32 v4, v1, s17
	s_waitcnt lgkmcnt(0)
	s_clause 0x1
	s_load_dword s53, s[4:5], 0x70
	s_load_dwordx4 s[56:59], s[4:5], 0x6c
	v_mul_lo_u32 v7, v1, s14
	s_mul_i32 s34, s34, s1
	v_cmp_gt_i32_e32 vcc_lo, s77, v24
	v_add_nc_u32_e32 v5, v2, v5
	v_add_nc_u32_e32 v3, v24, v3
	v_sub_nc_u32_e32 v21, v96, v8
	v_add_nc_u32_e32 v4, v1, v4
	s_sub_i32 s21, s21, s34
	v_lshrrev_b32_e32 v5, s45, v5
	v_lshrrev_b32_e32 v6, s62, v3
	s_clause 0x2
	s_load_dwordx2 s[42:43], s[4:5], 0x88
	s_load_dwordx2 s[62:63], s[4:5], 0x98
	;; [unrolled: 1-line block ×3, first 2 shown]
	v_lshrrev_b32_e32 v4, s45, v4
	v_sub_nc_u32_e32 v7, v23, v7
	v_mul_hi_u32 v10, v5, s16
	v_mul_hi_u32 v3, v6, s41
	v_mul_lo_u32 v12, v5, s13
	v_mul_hi_u32 v9, v4, s16
	s_mul_i32 s21, s21, s22
	s_waitcnt lgkmcnt(0)
	s_mov_b32 s59, 0
	s_add_i32 s47, s47, s21
	s_and_b32 s21, s7, 0xffff
	v_add_nc_u32_e32 v10, v5, v10
	v_add_nc_u32_e32 v3, v6, v3
	v_sub_nc_u32_e32 v119, v2, v12
	v_add_nc_u32_e32 v8, v4, v9
	v_lshl_or_b32 v115, s47, 7, v22
	v_lshrrev_b32_e32 v118, s44, v10
	v_lshrrev_b32_e32 v11, s61, v3
	v_mul_lo_u32 v3, v4, s13
	v_lshrrev_b32_e32 v2, s44, v8
	v_lshlrev_b32_e32 v22, 2, v22
	v_mul_lo_u32 v12, v118, s12
	v_mul_hi_u32 v13, v11, s40
	s_clause 0x6
	s_load_dword s1, s[4:5], 0x160
	s_load_dword s9, s[4:5], 0x198
	;; [unrolled: 1-line block ×5, first 2 shown]
	s_load_dwordx2 s[40:41], s[4:5], 0x1d0
	s_load_dword s55, s[4:5], 0x188
	v_mul_lo_u32 v10, v2, s12
	v_lshl_or_b32 v93, v95, 9, v22
	v_sub_nc_u32_e32 v1, v1, v3
	v_sub_nc_u32_e32 v3, v21, v7
	v_or_b32_e32 v22, 32, v95
	v_sub_nc_u32_e32 v120, v5, v12
	v_add_nc_u32_e32 v9, v11, v13
	v_mul_lo_u32 v5, v6, s38
	v_sub_nc_u32_e32 v13, v118, v2
	v_sub_nc_u32_e32 v4, v4, v10
	v_mul_lo_u32 v12, v11, s37
	v_lshrrev_b32_e32 v8, s60, v9
	v_sub_nc_u32_e32 v9, v119, v1
	v_mul_lo_u32 v1, v1, s68
	v_mul_lo_u32 v2, v2, s42
	;; [unrolled: 1-line block ×3, first 2 shown]
	v_sub_nc_u32_e32 v5, v24, v5
	v_mul_lo_u32 v114, v9, s68
	v_mul_lo_u32 v9, v3, s70
	;; [unrolled: 1-line block ×3, first 2 shown]
	v_sub_nc_u32_e32 v4, v120, v4
	v_mul_lo_u32 v13, v8, s36
	v_sub_nc_u32_e32 v6, v6, v12
	v_mad_u64_u32 v[17:18], null, v5, s69, v[1:2]
	v_mul_lo_u32 v10, v114, s31
	v_mul_lo_u32 v117, v4, s62
	v_mad_u64_u32 v[18:19], null, v6, s63, v[3:4]
	v_mul_lo_u32 v3, v116, s29
	v_sub_nc_u32_e32 v1, v11, v13
	v_mul_lo_u32 v4, v7, s70
	s_waitcnt lgkmcnt(0)
	v_mul_lo_u32 v97, s9, v95
	v_mul_lo_u32 v94, v115, s2
	v_mul_lo_u32 v6, v8, s28
	s_lshl_b32 s57, s9, 2
	s_lshl_b32 s38, s3, 1
	v_mad_u64_u32 v[19:20], null, v1, s43, v[2:3]
	v_subrev_nc_u32_e32 v1, s53, v17
	v_subrev_nc_u32_e32 v2, s11, v18
	v_add3_u32 v9, v10, v9, v3
	v_mul_lo_u32 v10, v117, s30
	v_add_nc_u32_e32 v5, v94, v97
	v_mul_lo_u32 v1, v1, s31
	v_mul_lo_u32 v2, v2, s30
	v_subrev_nc_u32_e32 v3, s65, v19
	s_mov_b32 s36, s48
	s_mov_b32 s37, s49
	s_lshl_b32 s22, s1, 1
	v_lshrrev_b32_e32 v20, 5, v0
	v_mul_lo_u32 v7, v3, s29
	v_lshlrev_b32_e32 v3, 1, v5
	v_add3_u32 v8, v1, v4, v2
	v_add_lshl_u32 v5, v5, s57, 1
	v_lshlrev_b32_e32 v90, 6, v20
	v_lshlrev_b32_e32 v20, 3, v20
	buffer_load_dwordx4 v[1:4], v3, s[36:39], 0 offen
	s_sub_i32 s43, s56, s58
	v_add3_u32 v11, v8, v6, v7
	buffer_load_dwordx4 v[5:8], v5, s[36:39], 0 offen
	v_and_or_b32 v92, v89, 4, v20
	v_or_b32_e32 v20, 36, v95
	v_cmp_gt_i32_e64 s0, s0, v115
	v_add3_u32 v121, v9, v10, v11
	v_lshlrev_b32_e32 v9, 1, v11
	v_add_nc_u32_e32 v115, v17, v114
	v_cmp_gt_i32_e64 s1, s71, v23
	v_cmp_gt_i32_e64 s7, s43, v17
	v_lshlrev_b32_e32 v13, 1, v121
	s_clause 0x1
	buffer_load_dwordx4 v[9:12], v9, s[20:23], 0 offen
	buffer_load_dwordx4 v[13:16], v13, s[20:23], 0 offen
	s_mul_i32 s61, s9, 12
	v_mul_lo_u32 v98, s9, v20
	v_mul_lo_u32 v99, s9, v22
	;; [unrolled: 1-line block ×4, first 2 shown]
	v_cmp_gt_i32_e64 s2, s71, v96
	s_lshl_b32 s56, s9, 5
	s_lshl_b32 s58, s9, 6
	v_cmp_gt_i32_e64 s9, s43, v115
	s_mov_b32 s60, s17
	s_sub_i32 s17, s52, s54
	s_mov_b32 s50, s38
	s_and_b32 s38, s7, s1
	v_cmp_le_i32_e64 s1, s53, v115
	v_add_nc_u32_e32 v117, v18, v117
	s_clause 0x5
	s_load_dword s28, s[4:5], 0x22c
	s_load_dword s15, s[4:5], 0x238
	;; [unrolled: 1-line block ×4, first 2 shown]
	s_load_dwordx2 s[36:37], s[4:5], 0x210
	s_load_dwordx2 s[34:35], s[4:5], 0x220
	s_waitcnt lgkmcnt(0)
	s_sub_i32 s37, s8, s10
	v_cmp_le_i32_e64 s8, s53, v17
	v_cmp_le_i32_e64 s7, s11, v18
	v_cmp_gt_i32_e64 s10, s17, v18
	v_add_nc_u32_e32 v116, v19, v116
	s_and_b32 s2, s9, s2
	v_cmp_gt_i32_e64 s3, s55, v97
	s_and_b32 s77, s2, s1
	v_cmp_le_i32_e64 s1, s11, v117
	v_cmp_gt_i32_e64 s2, s17, v117
	v_add_nc_u32_e32 v97, s57, v97
	s_and_b32 s38, s38, s8
	s_and_b32 s78, s7, s10
	v_cmp_le_i32_e64 s7, s65, v19
	v_cmp_gt_i32_e64 s8, s37, v19
	v_cmp_le_i32_e64 s9, s65, v116
	v_cmp_gt_i32_e64 s10, s37, v116
	v_lshlrev_b32_e32 v0, 2, v0
	v_sub_nc_u32_e32 v90, v91, v90
	s_and_b32 s1, s1, s2
	v_mul_lo_u32 v102, s74, v102
	v_mul_lo_u32 v103, s74, v103
	v_mul_lo_u32 v104, s74, v22
	v_mul_lo_u32 v105, s74, v20
	s_sub_i32 s54, s6, 32
	v_cmp_gt_i32_e64 s6, s55, v97
	s_and_b32 s2, s38, s78
	s_and_b32 s1, s77, s1
	;; [unrolled: 1-line block ×7, first 2 shown]
	v_and_or_b32 v91, v0, 4, v90
	v_lshlrev_b32_e32 v89, 2, v92
	v_lshlrev_b32_e32 v106, 1, v98
	;; [unrolled: 1-line block ×6, first 2 shown]
	v_mov_b32_e32 v110, v105
	v_mov_b32_e32 v111, v104
	;; [unrolled: 1-line block ×4, first 2 shown]
	v_lshlrev_b32_e32 v114, 1, v94
	s_mov_b32 s69, 0
	s_mov_b32 s51, s23
	s_mul_i32 s63, s74, 12
	s_lshl_b32 s52, s74, 2
	s_lshl_b32 s75, s74, 5
	s_sub_i32 s76, 0, s14
	s_waitcnt vmcnt(3)
	v_cndmask_b32_e64 v2, 0, v2, s1
	v_cndmask_b32_e64 v1, 0, v1, s1
	;; [unrolled: 1-line block ×4, first 2 shown]
	s_and_b32 s1, s6, s0
	ds_write2st64_b32 v93, v1, v2 offset0:64 offset1:66
	ds_write2st64_b32 v93, v3, v0 offset0:68 offset1:70
	s_waitcnt vmcnt(2)
	v_cndmask_b32_e64 v4, 0, v8, s1
	v_cndmask_b32_e64 v7, 0, v7, s1
	;; [unrolled: 1-line block ×4, first 2 shown]
	s_and_b32 s1, vcc_lo, s2
	s_waitcnt vmcnt(1)
	v_cndmask_b32_e64 v0, 0, v12, s1
	v_cndmask_b32_e64 v1, 0, v11, s1
	;; [unrolled: 1-line block ×4, first 2 shown]
	s_and_b32 s1, vcc_lo, s7
	s_waitcnt vmcnt(0)
	v_cndmask_b32_e64 v9, 0, v14, s1
	v_cndmask_b32_e64 v10, 0, v13, s1
	;; [unrolled: 1-line block ×4, first 2 shown]
	ds_write2st64_b32 v93, v5, v6 offset0:72 offset1:74
	ds_write2st64_b32 v93, v3, v2 offset1:2
	ds_write2st64_b32 v93, v1, v0 offset0:4 offset1:6
	ds_write2st64_b32 v93, v10, v9 offset0:8 offset1:10
	;; [unrolled: 1-line block ×4, first 2 shown]
.LBB9_1:                                ; =>This Inner Loop Header: Depth=1
	v_mul_hi_u32 v0, s18, v113
	v_add_nc_u32_e32 v20, s59, v102
	v_mul_hi_u32 v1, s18, v112
	v_add_nc_u32_e32 v16, s59, v103
	v_add_nc_u32_e32 v2, v109, v114
	;; [unrolled: 1-line block ×3, first 2 shown]
	s_clause 0x1
	buffer_load_dwordx4 v[12:15], v2, s[48:51], 0 offen
	buffer_load_dwordx4 v[8:11], v3, s[48:51], 0 offen
	v_add_nc_u32_e32 v0, v20, v0
	v_add_nc_u32_e32 v1, v16, v1
	v_cmp_gt_i32_e64 s1, s55, v100
	v_add_nc_u32_e32 v24, s59, v104
	v_cmp_gt_i32_e64 s2, s55, v101
	v_lshrrev_b32_e32 v0, s46, v0
	v_lshrrev_b32_e32 v1, s46, v1
	s_and_b32 s1, s0, s1
	v_add_nc_u32_e32 v100, s56, v100
	s_and_b32 s2, s0, s2
	v_mul_hi_u32 v2, v0, s60
	v_mul_hi_u32 v4, v1, s60
	v_mad_u64_u32 v[17:18], null, s76, v1, v[16:17]
	v_mul_lo_u32 v3, s76, v0
	v_add_nc_u32_e32 v101, s56, v101
	v_add_nc_u32_e32 v113, s75, v113
	;; [unrolled: 1-line block ×5, first 2 shown]
	s_add_i32 s69, s69, 32
	v_sub_nc_u32_e32 v5, v3, v21
	v_lshrrev_b32_e32 v2, s45, v2
	v_lshrrev_b32_e32 v4, s45, v4
	v_add_nc_u32_e32 v3, v20, v3
	v_add_nc_u32_e32 v5, v20, v5
	v_mul_hi_u32 v6, v2, s16
	v_mul_lo_u32 v7, v2, s13
	v_mul_hi_u32 v18, v4, s16
	v_mul_lo_u32 v19, v4, s13
	v_sub_nc_u32_e32 v3, v17, v3
	v_mul_lo_u32 v5, v5, s70
	v_add_nc_u32_e32 v6, v2, v6
	v_sub_nc_u32_e32 v0, v0, v7
	v_add_nc_u32_e32 v7, v4, v18
	v_sub_nc_u32_e32 v125, v1, v19
	v_mul_lo_u32 v3, v3, s70
	v_lshrrev_b32_e32 v1, s44, v6
	v_sub_nc_u32_e32 v6, v0, v119
	v_lshrrev_b32_e32 v119, s44, v7
	v_sub_nc_u32_e32 v0, v125, v0
	v_mul_lo_u32 v7, v1, s12
	v_sub_nc_u32_e32 v18, v1, v118
	v_mul_lo_u32 v23, v6, s68
	v_mul_lo_u32 v6, v119, s12
	v_sub_nc_u32_e32 v1, v119, v1
	v_mul_lo_u32 v22, v0, s68
	v_mul_lo_u32 v130, v18, s42
	v_mul_hi_u32 v118, s18, v111
	v_sub_nc_u32_e32 v0, v2, v7
	v_mul_lo_u32 v21, v1, s42
	v_mul_lo_u32 v1, v23, s31
	v_sub_nc_u32_e32 v129, v4, v6
	v_add_nc_u32_e32 v111, s75, v111
	v_sub_nc_u32_e32 v4, v0, v120
	v_mul_lo_u32 v2, v22, s31
	v_mul_lo_u32 v6, v130, s29
	v_sub_nc_u32_e32 v0, v129, v0
	v_mul_lo_u32 v7, v21, s29
	v_mul_lo_u32 v19, v4, s62
	v_add3_u32 v1, v5, v121, v1
	v_mul_lo_u32 v18, v0, s62
	v_add3_u32 v0, v2, v3, v7
	v_mul_lo_u32 v2, v19, s30
	v_mul_lo_u32 v3, v18, s30
	v_add3_u32 v1, v1, v6, v2
	v_add3_u32 v120, v0, v1, v3
	v_lshlrev_b32_e32 v0, 1, v1
	v_lshlrev_b32_e32 v1, 1, v120
	s_clause 0x1
	buffer_load_dwordx4 v[4:7], v0, s[20:23], 0 offen
	buffer_load_dwordx4 v[0:3], v1, s[20:23], 0 offen
	s_waitcnt lgkmcnt(0)
	s_barrier
	ds_read_b128 v[121:124], v89
	ds_read_b128 v[131:134], v90 offset:16384
	ds_read_b128 v[135:138], v90 offset:16640
	;; [unrolled: 1-line block ×3, first 2 shown]
	s_waitcnt lgkmcnt(2)
	v_dot2c_f32_f16 v88, v121, v131
	v_dot2c_f32_f16 v87, v121, v132
	v_dot2c_f32_f16 v61, v121, v133
	v_dot2c_f32_f16 v60, v121, v134
	v_dot2c_f32_f16 v84, v122, v131
	v_dot2c_f32_f16 v83, v122, v132
	v_dot2c_f32_f16 v50, v122, v133
	v_dot2c_f32_f16 v49, v122, v134
	v_dot2c_f32_f16 v80, v123, v131
	v_dot2c_f32_f16 v79, v123, v132
	v_dot2c_f32_f16 v48, v123, v133
	v_dot2c_f32_f16 v47, v123, v134
	v_dot2c_f32_f16 v76, v124, v131
	v_dot2c_f32_f16 v75, v124, v132
	v_dot2c_f32_f16 v42, v124, v133
	v_dot2c_f32_f16 v41, v124, v134
	s_waitcnt lgkmcnt(1)
	v_dot2c_f32_f16 v86, v121, v135
	v_dot2c_f32_f16 v85, v121, v136
	v_dot2c_f32_f16 v54, v121, v137
	v_dot2c_f32_f16 v53, v121, v138
	v_dot2c_f32_f16 v82, v122, v135
	v_dot2c_f32_f16 v81, v122, v136
	v_dot2c_f32_f16 v51, v122, v137
	v_dot2c_f32_f16 v52, v122, v138
	v_dot2c_f32_f16 v78, v123, v135
	v_dot2c_f32_f16 v77, v123, v136
	v_dot2c_f32_f16 v45, v123, v137
	v_dot2c_f32_f16 v46, v123, v138
	v_dot2c_f32_f16 v74, v124, v135
	v_dot2c_f32_f16 v73, v124, v136
	v_dot2c_f32_f16 v43, v124, v137
	v_dot2c_f32_f16 v44, v124, v138
	;; [unrolled: 17-line block ×3, first 2 shown]
	v_dot2c_f32_f16 v70, v139, v135
	v_dot2c_f32_f16 v69, v139, v136
	;; [unrolled: 1-line block ×16, first 2 shown]
	ds_read_b128 v[121:124], v89 offset:512
	ds_read_b128 v[131:134], v90 offset:16896
	;; [unrolled: 1-line block ×4, first 2 shown]
	s_waitcnt lgkmcnt(2)
	v_dot2c_f32_f16 v88, v121, v131
	v_dot2c_f32_f16 v87, v121, v132
	v_dot2c_f32_f16 v61, v121, v133
	v_dot2c_f32_f16 v60, v121, v134
	v_dot2c_f32_f16 v84, v122, v131
	v_dot2c_f32_f16 v83, v122, v132
	v_dot2c_f32_f16 v50, v122, v133
	v_dot2c_f32_f16 v49, v122, v134
	v_dot2c_f32_f16 v80, v123, v131
	v_dot2c_f32_f16 v79, v123, v132
	v_dot2c_f32_f16 v48, v123, v133
	v_dot2c_f32_f16 v47, v123, v134
	v_dot2c_f32_f16 v76, v124, v131
	v_dot2c_f32_f16 v75, v124, v132
	v_dot2c_f32_f16 v42, v124, v133
	v_dot2c_f32_f16 v41, v124, v134
	s_waitcnt lgkmcnt(1)
	v_dot2c_f32_f16 v86, v121, v135
	v_dot2c_f32_f16 v85, v121, v136
	v_dot2c_f32_f16 v54, v121, v137
	v_dot2c_f32_f16 v53, v121, v138
	v_dot2c_f32_f16 v82, v122, v135
	v_dot2c_f32_f16 v81, v122, v136
	v_dot2c_f32_f16 v51, v122, v137
	v_dot2c_f32_f16 v52, v122, v138
	v_dot2c_f32_f16 v78, v123, v135
	v_dot2c_f32_f16 v77, v123, v136
	v_dot2c_f32_f16 v45, v123, v137
	v_dot2c_f32_f16 v46, v123, v138
	v_dot2c_f32_f16 v74, v124, v135
	v_dot2c_f32_f16 v73, v124, v136
	v_dot2c_f32_f16 v43, v124, v137
	v_dot2c_f32_f16 v44, v124, v138
	;; [unrolled: 17-line block ×3, first 2 shown]
	v_dot2c_f32_f16 v70, v139, v135
	v_dot2c_f32_f16 v69, v139, v136
	;; [unrolled: 1-line block ×16, first 2 shown]
	ds_read_b128 v[121:124], v89 offset:1024
	ds_read_b128 v[131:134], v90 offset:17408
	;; [unrolled: 1-line block ×4, first 2 shown]
	s_waitcnt lgkmcnt(2)
	v_dot2c_f32_f16 v88, v121, v131
	v_dot2c_f32_f16 v87, v121, v132
	v_dot2c_f32_f16 v61, v121, v133
	v_dot2c_f32_f16 v60, v121, v134
	v_dot2c_f32_f16 v84, v122, v131
	v_dot2c_f32_f16 v83, v122, v132
	v_dot2c_f32_f16 v50, v122, v133
	v_dot2c_f32_f16 v49, v122, v134
	v_dot2c_f32_f16 v80, v123, v131
	v_dot2c_f32_f16 v79, v123, v132
	v_dot2c_f32_f16 v48, v123, v133
	v_dot2c_f32_f16 v47, v123, v134
	v_dot2c_f32_f16 v76, v124, v131
	v_dot2c_f32_f16 v75, v124, v132
	v_dot2c_f32_f16 v42, v124, v133
	v_dot2c_f32_f16 v41, v124, v134
	s_waitcnt lgkmcnt(1)
	v_dot2c_f32_f16 v86, v121, v135
	v_dot2c_f32_f16 v85, v121, v136
	v_dot2c_f32_f16 v54, v121, v137
	v_dot2c_f32_f16 v53, v121, v138
	v_dot2c_f32_f16 v82, v122, v135
	v_dot2c_f32_f16 v81, v122, v136
	v_dot2c_f32_f16 v51, v122, v137
	v_dot2c_f32_f16 v52, v122, v138
	v_dot2c_f32_f16 v78, v123, v135
	v_dot2c_f32_f16 v77, v123, v136
	v_dot2c_f32_f16 v45, v123, v137
	v_dot2c_f32_f16 v46, v123, v138
	v_dot2c_f32_f16 v74, v124, v135
	v_dot2c_f32_f16 v73, v124, v136
	v_dot2c_f32_f16 v43, v124, v137
	v_dot2c_f32_f16 v44, v124, v138
	;; [unrolled: 17-line block ×3, first 2 shown]
	v_dot2c_f32_f16 v70, v139, v135
	v_dot2c_f32_f16 v69, v139, v136
	;; [unrolled: 1-line block ×16, first 2 shown]
	ds_read_b128 v[121:124], v89 offset:1536
	ds_read_b128 v[131:134], v90 offset:17920
	;; [unrolled: 1-line block ×4, first 2 shown]
	s_waitcnt vmcnt(3)
	v_cndmask_b32_e64 v15, 0, v15, s2
	v_cndmask_b32_e64 v14, 0, v14, s2
	;; [unrolled: 1-line block ×4, first 2 shown]
	v_cmp_gt_i32_e64 s2, s71, v20
	s_waitcnt lgkmcnt(2)
	v_dot2c_f32_f16 v88, v121, v131
	v_dot2c_f32_f16 v87, v121, v132
	v_dot2c_f32_f16 v61, v121, v133
	v_dot2c_f32_f16 v60, v121, v134
	v_dot2c_f32_f16 v84, v122, v131
	v_dot2c_f32_f16 v83, v122, v132
	v_dot2c_f32_f16 v50, v122, v133
	v_dot2c_f32_f16 v49, v122, v134
	v_dot2c_f32_f16 v80, v123, v131
	v_dot2c_f32_f16 v79, v123, v132
	v_dot2c_f32_f16 v48, v123, v133
	v_dot2c_f32_f16 v47, v123, v134
	v_dot2c_f32_f16 v76, v124, v131
	v_dot2c_f32_f16 v75, v124, v132
	v_dot2c_f32_f16 v42, v124, v133
	v_dot2c_f32_f16 v41, v124, v134
	s_waitcnt lgkmcnt(1)
	v_dot2c_f32_f16 v86, v121, v135
	v_dot2c_f32_f16 v85, v121, v136
	v_dot2c_f32_f16 v54, v121, v137
	v_dot2c_f32_f16 v53, v121, v138
	v_dot2c_f32_f16 v82, v122, v135
	v_dot2c_f32_f16 v81, v122, v136
	v_dot2c_f32_f16 v51, v122, v137
	v_dot2c_f32_f16 v52, v122, v138
	v_dot2c_f32_f16 v78, v123, v135
	v_dot2c_f32_f16 v77, v123, v136
	v_dot2c_f32_f16 v45, v123, v137
	v_dot2c_f32_f16 v46, v123, v138
	v_dot2c_f32_f16 v74, v124, v135
	v_dot2c_f32_f16 v73, v124, v136
	v_dot2c_f32_f16 v43, v124, v137
	v_dot2c_f32_f16 v44, v124, v138
	;; [unrolled: 17-line block ×3, first 2 shown]
	v_dot2c_f32_f16 v70, v139, v135
	v_dot2c_f32_f16 v69, v139, v136
	;; [unrolled: 1-line block ×16, first 2 shown]
	ds_read_b128 v[121:124], v89 offset:2048
	ds_read_b128 v[131:134], v90 offset:18432
	;; [unrolled: 1-line block ×4, first 2 shown]
	s_waitcnt lgkmcnt(2)
	v_dot2c_f32_f16 v88, v121, v131
	v_dot2c_f32_f16 v87, v121, v132
	v_dot2c_f32_f16 v61, v121, v133
	v_dot2c_f32_f16 v60, v121, v134
	v_dot2c_f32_f16 v84, v122, v131
	v_dot2c_f32_f16 v83, v122, v132
	v_dot2c_f32_f16 v50, v122, v133
	v_dot2c_f32_f16 v49, v122, v134
	v_dot2c_f32_f16 v80, v123, v131
	v_dot2c_f32_f16 v79, v123, v132
	v_dot2c_f32_f16 v48, v123, v133
	v_dot2c_f32_f16 v47, v123, v134
	v_dot2c_f32_f16 v76, v124, v131
	v_dot2c_f32_f16 v75, v124, v132
	v_dot2c_f32_f16 v42, v124, v133
	v_dot2c_f32_f16 v41, v124, v134
	s_waitcnt lgkmcnt(1)
	v_dot2c_f32_f16 v86, v121, v135
	v_dot2c_f32_f16 v85, v121, v136
	v_dot2c_f32_f16 v54, v121, v137
	v_dot2c_f32_f16 v53, v121, v138
	v_dot2c_f32_f16 v82, v122, v135
	v_dot2c_f32_f16 v81, v122, v136
	v_dot2c_f32_f16 v51, v122, v137
	v_dot2c_f32_f16 v52, v122, v138
	v_dot2c_f32_f16 v78, v123, v135
	v_dot2c_f32_f16 v77, v123, v136
	v_dot2c_f32_f16 v45, v123, v137
	v_dot2c_f32_f16 v46, v123, v138
	v_dot2c_f32_f16 v74, v124, v135
	v_dot2c_f32_f16 v73, v124, v136
	v_dot2c_f32_f16 v43, v124, v137
	v_dot2c_f32_f16 v44, v124, v138
	;; [unrolled: 17-line block ×3, first 2 shown]
	v_dot2c_f32_f16 v70, v139, v135
	v_dot2c_f32_f16 v69, v139, v136
	;; [unrolled: 1-line block ×16, first 2 shown]
	ds_read_b128 v[121:124], v89 offset:2560
	ds_read_b128 v[131:134], v90 offset:18944
	;; [unrolled: 1-line block ×4, first 2 shown]
	s_waitcnt lgkmcnt(2)
	v_dot2c_f32_f16 v88, v121, v131
	v_dot2c_f32_f16 v87, v121, v132
	v_dot2c_f32_f16 v61, v121, v133
	v_dot2c_f32_f16 v60, v121, v134
	v_dot2c_f32_f16 v84, v122, v131
	v_dot2c_f32_f16 v83, v122, v132
	v_dot2c_f32_f16 v50, v122, v133
	v_dot2c_f32_f16 v49, v122, v134
	v_dot2c_f32_f16 v80, v123, v131
	v_dot2c_f32_f16 v79, v123, v132
	v_dot2c_f32_f16 v48, v123, v133
	v_dot2c_f32_f16 v47, v123, v134
	v_dot2c_f32_f16 v76, v124, v131
	v_dot2c_f32_f16 v75, v124, v132
	v_dot2c_f32_f16 v42, v124, v133
	v_dot2c_f32_f16 v41, v124, v134
	s_waitcnt lgkmcnt(1)
	v_dot2c_f32_f16 v86, v121, v135
	v_dot2c_f32_f16 v85, v121, v136
	v_dot2c_f32_f16 v54, v121, v137
	v_dot2c_f32_f16 v53, v121, v138
	v_dot2c_f32_f16 v82, v122, v135
	v_dot2c_f32_f16 v81, v122, v136
	v_dot2c_f32_f16 v51, v122, v137
	v_dot2c_f32_f16 v52, v122, v138
	v_dot2c_f32_f16 v78, v123, v135
	v_dot2c_f32_f16 v77, v123, v136
	v_dot2c_f32_f16 v45, v123, v137
	v_dot2c_f32_f16 v46, v123, v138
	v_dot2c_f32_f16 v74, v124, v135
	v_dot2c_f32_f16 v73, v124, v136
	v_dot2c_f32_f16 v43, v124, v137
	v_dot2c_f32_f16 v44, v124, v138
	;; [unrolled: 17-line block ×3, first 2 shown]
	v_dot2c_f32_f16 v70, v139, v135
	v_dot2c_f32_f16 v69, v139, v136
	;; [unrolled: 1-line block ×16, first 2 shown]
	ds_read_b128 v[121:124], v89 offset:3072
	ds_read_b128 v[131:134], v90 offset:19456
	;; [unrolled: 1-line block ×4, first 2 shown]
	s_waitcnt lgkmcnt(2)
	v_dot2c_f32_f16 v88, v121, v131
	v_dot2c_f32_f16 v87, v121, v132
	v_dot2c_f32_f16 v61, v121, v133
	v_dot2c_f32_f16 v60, v121, v134
	v_dot2c_f32_f16 v84, v122, v131
	v_dot2c_f32_f16 v83, v122, v132
	v_dot2c_f32_f16 v50, v122, v133
	v_dot2c_f32_f16 v49, v122, v134
	v_dot2c_f32_f16 v80, v123, v131
	v_dot2c_f32_f16 v79, v123, v132
	v_dot2c_f32_f16 v48, v123, v133
	v_dot2c_f32_f16 v47, v123, v134
	v_dot2c_f32_f16 v76, v124, v131
	v_dot2c_f32_f16 v75, v124, v132
	v_dot2c_f32_f16 v42, v124, v133
	v_dot2c_f32_f16 v41, v124, v134
	s_waitcnt lgkmcnt(1)
	v_dot2c_f32_f16 v86, v121, v135
	v_dot2c_f32_f16 v85, v121, v136
	v_dot2c_f32_f16 v54, v121, v137
	v_dot2c_f32_f16 v53, v121, v138
	v_dot2c_f32_f16 v82, v122, v135
	v_dot2c_f32_f16 v81, v122, v136
	v_dot2c_f32_f16 v51, v122, v137
	v_dot2c_f32_f16 v52, v122, v138
	v_dot2c_f32_f16 v78, v123, v135
	v_dot2c_f32_f16 v77, v123, v136
	v_dot2c_f32_f16 v45, v123, v137
	v_dot2c_f32_f16 v46, v123, v138
	v_dot2c_f32_f16 v74, v124, v135
	v_dot2c_f32_f16 v73, v124, v136
	v_dot2c_f32_f16 v43, v124, v137
	v_dot2c_f32_f16 v44, v124, v138
	s_waitcnt lgkmcnt(0)
	v_dot2c_f32_f16 v72, v139, v131
	v_dot2c_f32_f16 v71, v139, v132
	v_dot2c_f32_f16 v26, v139, v133
	v_dot2c_f32_f16 v25, v139, v134
	v_dot2c_f32_f16 v67, v140, v131
	v_dot2c_f32_f16 v66, v140, v132
	v_dot2c_f32_f16 v32, v140, v133
	v_dot2c_f32_f16 v31, v140, v134
	v_dot2c_f32_f16 v59, v141, v131
	v_dot2c_f32_f16 v58, v141, v132
	v_dot2c_f32_f16 v34, v141, v133
	v_dot2c_f32_f16 v33, v141, v134
	v_dot2c_f32_f16 v55, v142, v131
	v_dot2c_f32_f16 v68, v142, v132
	v_dot2c_f32_f16 v39, v142, v133
	v_dot2c_f32_f16 v40, v142, v134
	v_dot2c_f32_f16 v70, v139, v135
	v_dot2c_f32_f16 v69, v139, v136
	v_dot2c_f32_f16 v28, v139, v137
	v_dot2c_f32_f16 v27, v139, v138
	v_dot2c_f32_f16 v65, v140, v135
	v_dot2c_f32_f16 v63, v140, v136
	v_dot2c_f32_f16 v30, v140, v137
	v_dot2c_f32_f16 v29, v140, v138
	v_dot2c_f32_f16 v57, v141, v135
	v_dot2c_f32_f16 v56, v141, v136
	v_dot2c_f32_f16 v36, v141, v137
	v_dot2c_f32_f16 v35, v141, v138
	v_dot2c_f32_f16 v64, v142, v135
	v_dot2c_f32_f16 v62, v142, v136
	v_dot2c_f32_f16 v37, v142, v137
	v_dot2c_f32_f16 v38, v142, v138
	ds_read_b128 v[121:124], v89 offset:3584
	ds_read_b128 v[131:134], v90 offset:19968
	;; [unrolled: 1-line block ×4, first 2 shown]
	s_waitcnt lgkmcnt(2)
	v_dot2c_f32_f16 v88, v121, v131
	v_dot2c_f32_f16 v87, v121, v132
	v_dot2c_f32_f16 v61, v121, v133
	v_dot2c_f32_f16 v60, v121, v134
	v_dot2c_f32_f16 v84, v122, v131
	v_dot2c_f32_f16 v83, v122, v132
	v_dot2c_f32_f16 v50, v122, v133
	v_dot2c_f32_f16 v49, v122, v134
	v_dot2c_f32_f16 v80, v123, v131
	v_dot2c_f32_f16 v79, v123, v132
	v_dot2c_f32_f16 v48, v123, v133
	v_dot2c_f32_f16 v47, v123, v134
	v_dot2c_f32_f16 v76, v124, v131
	v_dot2c_f32_f16 v75, v124, v132
	v_dot2c_f32_f16 v42, v124, v133
	v_dot2c_f32_f16 v41, v124, v134
	s_waitcnt lgkmcnt(1)
	v_dot2c_f32_f16 v86, v121, v135
	v_dot2c_f32_f16 v85, v121, v136
	v_dot2c_f32_f16 v54, v121, v137
	v_dot2c_f32_f16 v53, v121, v138
	v_dot2c_f32_f16 v82, v122, v135
	v_dot2c_f32_f16 v81, v122, v136
	v_dot2c_f32_f16 v51, v122, v137
	v_dot2c_f32_f16 v52, v122, v138
	v_dot2c_f32_f16 v78, v123, v135
	v_dot2c_f32_f16 v77, v123, v136
	v_dot2c_f32_f16 v45, v123, v137
	v_dot2c_f32_f16 v46, v123, v138
	v_dot2c_f32_f16 v74, v124, v135
	v_dot2c_f32_f16 v73, v124, v136
	v_dot2c_f32_f16 v43, v124, v137
	v_dot2c_f32_f16 v44, v124, v138
	;; [unrolled: 17-line block ×3, first 2 shown]
	v_dot2c_f32_f16 v70, v139, v135
	v_dot2c_f32_f16 v69, v139, v136
	;; [unrolled: 1-line block ×16, first 2 shown]
	ds_read_b128 v[121:124], v89 offset:4096
	ds_read_b128 v[131:134], v90 offset:20480
	;; [unrolled: 1-line block ×4, first 2 shown]
	s_waitcnt lgkmcnt(2)
	v_dot2c_f32_f16 v88, v121, v131
	v_dot2c_f32_f16 v87, v121, v132
	v_dot2c_f32_f16 v61, v121, v133
	v_dot2c_f32_f16 v60, v121, v134
	v_dot2c_f32_f16 v84, v122, v131
	v_dot2c_f32_f16 v83, v122, v132
	v_dot2c_f32_f16 v50, v122, v133
	v_dot2c_f32_f16 v49, v122, v134
	v_dot2c_f32_f16 v80, v123, v131
	v_dot2c_f32_f16 v79, v123, v132
	v_dot2c_f32_f16 v48, v123, v133
	v_dot2c_f32_f16 v47, v123, v134
	v_dot2c_f32_f16 v76, v124, v131
	v_dot2c_f32_f16 v75, v124, v132
	v_dot2c_f32_f16 v42, v124, v133
	v_dot2c_f32_f16 v41, v124, v134
	s_waitcnt lgkmcnt(1)
	v_dot2c_f32_f16 v86, v121, v135
	v_dot2c_f32_f16 v85, v121, v136
	v_dot2c_f32_f16 v54, v121, v137
	v_dot2c_f32_f16 v53, v121, v138
	v_dot2c_f32_f16 v82, v122, v135
	v_dot2c_f32_f16 v81, v122, v136
	v_dot2c_f32_f16 v51, v122, v137
	v_dot2c_f32_f16 v52, v122, v138
	v_dot2c_f32_f16 v78, v123, v135
	v_dot2c_f32_f16 v77, v123, v136
	v_dot2c_f32_f16 v45, v123, v137
	v_dot2c_f32_f16 v46, v123, v138
	v_dot2c_f32_f16 v74, v124, v135
	v_dot2c_f32_f16 v73, v124, v136
	v_dot2c_f32_f16 v43, v124, v137
	v_dot2c_f32_f16 v44, v124, v138
	;; [unrolled: 17-line block ×3, first 2 shown]
	v_dot2c_f32_f16 v70, v139, v135
	v_dot2c_f32_f16 v69, v139, v136
	;; [unrolled: 1-line block ×16, first 2 shown]
	ds_read_b128 v[121:124], v89 offset:4608
	ds_read_b128 v[131:134], v90 offset:20992
	;; [unrolled: 1-line block ×4, first 2 shown]
	s_waitcnt lgkmcnt(2)
	v_dot2c_f32_f16 v88, v121, v131
	v_dot2c_f32_f16 v87, v121, v132
	v_dot2c_f32_f16 v61, v121, v133
	v_dot2c_f32_f16 v60, v121, v134
	v_dot2c_f32_f16 v84, v122, v131
	v_dot2c_f32_f16 v83, v122, v132
	v_dot2c_f32_f16 v50, v122, v133
	v_dot2c_f32_f16 v49, v122, v134
	v_dot2c_f32_f16 v80, v123, v131
	v_dot2c_f32_f16 v79, v123, v132
	v_dot2c_f32_f16 v48, v123, v133
	v_dot2c_f32_f16 v47, v123, v134
	v_dot2c_f32_f16 v76, v124, v131
	v_dot2c_f32_f16 v75, v124, v132
	v_dot2c_f32_f16 v42, v124, v133
	v_dot2c_f32_f16 v41, v124, v134
	s_waitcnt lgkmcnt(1)
	v_dot2c_f32_f16 v86, v121, v135
	v_dot2c_f32_f16 v85, v121, v136
	v_dot2c_f32_f16 v54, v121, v137
	v_dot2c_f32_f16 v53, v121, v138
	v_dot2c_f32_f16 v82, v122, v135
	v_dot2c_f32_f16 v81, v122, v136
	v_dot2c_f32_f16 v51, v122, v137
	v_dot2c_f32_f16 v52, v122, v138
	v_dot2c_f32_f16 v78, v123, v135
	v_dot2c_f32_f16 v77, v123, v136
	v_dot2c_f32_f16 v45, v123, v137
	v_dot2c_f32_f16 v46, v123, v138
	v_dot2c_f32_f16 v74, v124, v135
	v_dot2c_f32_f16 v73, v124, v136
	v_dot2c_f32_f16 v43, v124, v137
	v_dot2c_f32_f16 v44, v124, v138
	;; [unrolled: 17-line block ×3, first 2 shown]
	v_dot2c_f32_f16 v70, v139, v135
	v_dot2c_f32_f16 v69, v139, v136
	;; [unrolled: 1-line block ×16, first 2 shown]
	ds_read_b128 v[121:124], v89 offset:5120
	ds_read_b128 v[131:134], v90 offset:21504
	;; [unrolled: 1-line block ×4, first 2 shown]
	s_waitcnt lgkmcnt(2)
	v_dot2c_f32_f16 v88, v121, v131
	v_dot2c_f32_f16 v87, v121, v132
	v_dot2c_f32_f16 v61, v121, v133
	v_dot2c_f32_f16 v60, v121, v134
	v_dot2c_f32_f16 v84, v122, v131
	v_dot2c_f32_f16 v83, v122, v132
	v_dot2c_f32_f16 v50, v122, v133
	v_dot2c_f32_f16 v49, v122, v134
	v_dot2c_f32_f16 v80, v123, v131
	v_dot2c_f32_f16 v79, v123, v132
	v_dot2c_f32_f16 v48, v123, v133
	v_dot2c_f32_f16 v47, v123, v134
	v_dot2c_f32_f16 v76, v124, v131
	v_dot2c_f32_f16 v75, v124, v132
	v_dot2c_f32_f16 v42, v124, v133
	v_dot2c_f32_f16 v41, v124, v134
	s_waitcnt lgkmcnt(1)
	v_dot2c_f32_f16 v86, v121, v135
	v_dot2c_f32_f16 v85, v121, v136
	v_dot2c_f32_f16 v54, v121, v137
	v_dot2c_f32_f16 v53, v121, v138
	v_dot2c_f32_f16 v82, v122, v135
	v_dot2c_f32_f16 v81, v122, v136
	v_dot2c_f32_f16 v51, v122, v137
	v_dot2c_f32_f16 v52, v122, v138
	v_dot2c_f32_f16 v78, v123, v135
	v_dot2c_f32_f16 v77, v123, v136
	v_dot2c_f32_f16 v45, v123, v137
	v_dot2c_f32_f16 v46, v123, v138
	v_dot2c_f32_f16 v74, v124, v135
	v_dot2c_f32_f16 v73, v124, v136
	v_dot2c_f32_f16 v43, v124, v137
	v_dot2c_f32_f16 v44, v124, v138
	;; [unrolled: 17-line block ×3, first 2 shown]
	v_dot2c_f32_f16 v70, v139, v135
	v_dot2c_f32_f16 v69, v139, v136
	;; [unrolled: 1-line block ×16, first 2 shown]
	ds_read_b128 v[121:124], v89 offset:5632
	ds_read_b128 v[131:134], v90 offset:22016
	;; [unrolled: 1-line block ×4, first 2 shown]
	s_waitcnt lgkmcnt(2)
	v_dot2c_f32_f16 v88, v121, v131
	v_dot2c_f32_f16 v87, v121, v132
	v_dot2c_f32_f16 v61, v121, v133
	v_dot2c_f32_f16 v60, v121, v134
	v_dot2c_f32_f16 v84, v122, v131
	v_dot2c_f32_f16 v83, v122, v132
	v_dot2c_f32_f16 v50, v122, v133
	v_dot2c_f32_f16 v49, v122, v134
	v_dot2c_f32_f16 v80, v123, v131
	v_dot2c_f32_f16 v79, v123, v132
	v_dot2c_f32_f16 v48, v123, v133
	v_dot2c_f32_f16 v47, v123, v134
	v_dot2c_f32_f16 v76, v124, v131
	v_dot2c_f32_f16 v75, v124, v132
	v_dot2c_f32_f16 v42, v124, v133
	v_dot2c_f32_f16 v41, v124, v134
	s_waitcnt lgkmcnt(1)
	v_dot2c_f32_f16 v86, v121, v135
	v_dot2c_f32_f16 v85, v121, v136
	v_dot2c_f32_f16 v54, v121, v137
	v_dot2c_f32_f16 v53, v121, v138
	v_dot2c_f32_f16 v82, v122, v135
	v_dot2c_f32_f16 v81, v122, v136
	v_dot2c_f32_f16 v51, v122, v137
	v_dot2c_f32_f16 v52, v122, v138
	v_dot2c_f32_f16 v78, v123, v135
	v_dot2c_f32_f16 v77, v123, v136
	v_dot2c_f32_f16 v45, v123, v137
	v_dot2c_f32_f16 v46, v123, v138
	v_dot2c_f32_f16 v74, v124, v135
	v_dot2c_f32_f16 v73, v124, v136
	v_dot2c_f32_f16 v43, v124, v137
	v_dot2c_f32_f16 v44, v124, v138
	;; [unrolled: 17-line block ×3, first 2 shown]
	v_dot2c_f32_f16 v70, v139, v135
	v_dot2c_f32_f16 v69, v139, v136
	;; [unrolled: 1-line block ×16, first 2 shown]
	ds_read_b128 v[121:124], v89 offset:6144
	ds_read_b128 v[131:134], v90 offset:22528
	;; [unrolled: 1-line block ×4, first 2 shown]
	s_waitcnt lgkmcnt(2)
	v_dot2c_f32_f16 v88, v121, v131
	v_dot2c_f32_f16 v87, v121, v132
	v_dot2c_f32_f16 v61, v121, v133
	v_dot2c_f32_f16 v60, v121, v134
	v_dot2c_f32_f16 v84, v122, v131
	v_dot2c_f32_f16 v83, v122, v132
	v_dot2c_f32_f16 v50, v122, v133
	v_dot2c_f32_f16 v49, v122, v134
	v_dot2c_f32_f16 v80, v123, v131
	v_dot2c_f32_f16 v79, v123, v132
	v_dot2c_f32_f16 v48, v123, v133
	v_dot2c_f32_f16 v47, v123, v134
	v_dot2c_f32_f16 v76, v124, v131
	v_dot2c_f32_f16 v75, v124, v132
	v_dot2c_f32_f16 v42, v124, v133
	v_dot2c_f32_f16 v41, v124, v134
	s_waitcnt lgkmcnt(1)
	v_dot2c_f32_f16 v86, v121, v135
	v_dot2c_f32_f16 v85, v121, v136
	v_dot2c_f32_f16 v54, v121, v137
	v_dot2c_f32_f16 v53, v121, v138
	v_dot2c_f32_f16 v82, v122, v135
	v_dot2c_f32_f16 v81, v122, v136
	v_dot2c_f32_f16 v51, v122, v137
	v_dot2c_f32_f16 v52, v122, v138
	v_dot2c_f32_f16 v78, v123, v135
	v_dot2c_f32_f16 v77, v123, v136
	v_dot2c_f32_f16 v45, v123, v137
	v_dot2c_f32_f16 v46, v123, v138
	v_dot2c_f32_f16 v74, v124, v135
	v_dot2c_f32_f16 v73, v124, v136
	v_dot2c_f32_f16 v43, v124, v137
	v_dot2c_f32_f16 v44, v124, v138
	;; [unrolled: 17-line block ×3, first 2 shown]
	v_dot2c_f32_f16 v70, v139, v135
	v_dot2c_f32_f16 v69, v139, v136
	v_dot2c_f32_f16 v28, v139, v137
	v_dot2c_f32_f16 v27, v139, v138
	v_dot2c_f32_f16 v65, v140, v135
	v_dot2c_f32_f16 v63, v140, v136
	v_dot2c_f32_f16 v30, v140, v137
	v_dot2c_f32_f16 v29, v140, v138
	v_dot2c_f32_f16 v57, v141, v135
	v_dot2c_f32_f16 v56, v141, v136
	v_dot2c_f32_f16 v36, v141, v137
	v_dot2c_f32_f16 v35, v141, v138
	v_dot2c_f32_f16 v64, v142, v135
	v_dot2c_f32_f16 v62, v142, v136
	v_dot2c_f32_f16 v37, v142, v137
	v_dot2c_f32_f16 v38, v142, v138
	ds_read_b128 v[121:124], v89 offset:6656
	ds_read_b128 v[131:134], v90 offset:23040
	;; [unrolled: 1-line block ×4, first 2 shown]
	s_waitcnt lgkmcnt(2)
	v_dot2c_f32_f16 v88, v121, v131
	v_dot2c_f32_f16 v87, v121, v132
	v_dot2c_f32_f16 v61, v121, v133
	v_dot2c_f32_f16 v60, v121, v134
	v_dot2c_f32_f16 v84, v122, v131
	v_dot2c_f32_f16 v83, v122, v132
	v_dot2c_f32_f16 v50, v122, v133
	v_dot2c_f32_f16 v49, v122, v134
	v_dot2c_f32_f16 v80, v123, v131
	v_dot2c_f32_f16 v79, v123, v132
	v_dot2c_f32_f16 v48, v123, v133
	v_dot2c_f32_f16 v47, v123, v134
	v_dot2c_f32_f16 v76, v124, v131
	v_dot2c_f32_f16 v75, v124, v132
	v_dot2c_f32_f16 v42, v124, v133
	v_dot2c_f32_f16 v41, v124, v134
	s_waitcnt lgkmcnt(1)
	v_dot2c_f32_f16 v86, v121, v135
	v_dot2c_f32_f16 v85, v121, v136
	v_dot2c_f32_f16 v54, v121, v137
	v_dot2c_f32_f16 v53, v121, v138
	v_dot2c_f32_f16 v82, v122, v135
	v_dot2c_f32_f16 v81, v122, v136
	v_dot2c_f32_f16 v51, v122, v137
	v_dot2c_f32_f16 v52, v122, v138
	v_dot2c_f32_f16 v78, v123, v135
	v_dot2c_f32_f16 v77, v123, v136
	v_dot2c_f32_f16 v45, v123, v137
	v_dot2c_f32_f16 v46, v123, v138
	v_dot2c_f32_f16 v74, v124, v135
	v_dot2c_f32_f16 v73, v124, v136
	v_dot2c_f32_f16 v43, v124, v137
	v_dot2c_f32_f16 v44, v124, v138
	;; [unrolled: 17-line block ×3, first 2 shown]
	v_dot2c_f32_f16 v70, v139, v135
	v_dot2c_f32_f16 v69, v139, v136
	;; [unrolled: 1-line block ×16, first 2 shown]
	ds_read_b128 v[121:124], v89 offset:7168
	ds_read_b128 v[131:134], v90 offset:23552
	;; [unrolled: 1-line block ×4, first 2 shown]
	s_waitcnt lgkmcnt(2)
	v_dot2c_f32_f16 v88, v121, v131
	v_dot2c_f32_f16 v87, v121, v132
	v_dot2c_f32_f16 v61, v121, v133
	v_dot2c_f32_f16 v60, v121, v134
	v_dot2c_f32_f16 v84, v122, v131
	v_dot2c_f32_f16 v83, v122, v132
	v_dot2c_f32_f16 v50, v122, v133
	v_dot2c_f32_f16 v49, v122, v134
	v_dot2c_f32_f16 v80, v123, v131
	v_dot2c_f32_f16 v79, v123, v132
	v_dot2c_f32_f16 v48, v123, v133
	v_dot2c_f32_f16 v47, v123, v134
	v_dot2c_f32_f16 v76, v124, v131
	v_dot2c_f32_f16 v75, v124, v132
	v_dot2c_f32_f16 v42, v124, v133
	v_dot2c_f32_f16 v41, v124, v134
	s_waitcnt lgkmcnt(1)
	v_dot2c_f32_f16 v86, v121, v135
	v_dot2c_f32_f16 v85, v121, v136
	v_dot2c_f32_f16 v54, v121, v137
	v_dot2c_f32_f16 v53, v121, v138
	v_dot2c_f32_f16 v82, v122, v135
	v_dot2c_f32_f16 v81, v122, v136
	v_dot2c_f32_f16 v51, v122, v137
	v_dot2c_f32_f16 v52, v122, v138
	v_dot2c_f32_f16 v78, v123, v135
	v_dot2c_f32_f16 v77, v123, v136
	v_dot2c_f32_f16 v45, v123, v137
	v_dot2c_f32_f16 v46, v123, v138
	v_dot2c_f32_f16 v74, v124, v135
	v_dot2c_f32_f16 v73, v124, v136
	v_dot2c_f32_f16 v43, v124, v137
	v_dot2c_f32_f16 v44, v124, v138
	;; [unrolled: 17-line block ×3, first 2 shown]
	v_dot2c_f32_f16 v70, v139, v135
	v_dot2c_f32_f16 v69, v139, v136
	;; [unrolled: 1-line block ×16, first 2 shown]
	ds_read_b128 v[121:124], v89 offset:7680
	ds_read_b128 v[131:134], v90 offset:24064
	;; [unrolled: 1-line block ×4, first 2 shown]
	ds_write2st64_b32 v93, v12, v13 offset0:96 offset1:98
	s_waitcnt lgkmcnt(3)
	v_dot2c_f32_f16 v87, v121, v132
	v_dot2c_f32_f16 v83, v122, v132
	;; [unrolled: 1-line block ×4, first 2 shown]
	s_waitcnt lgkmcnt(1)
	v_dot2c_f32_f16 v71, v139, v132
	v_dot2c_f32_f16 v66, v140, v132
	;; [unrolled: 1-line block ×4, first 2 shown]
	s_waitcnt vmcnt(2)
	v_cndmask_b32_e64 v132, 0, v10, s1
	v_mul_hi_u32 v10, s18, v110
	v_dot2c_f32_f16 v76, v124, v131
	v_dot2c_f32_f16 v42, v124, v133
	;; [unrolled: 1-line block ×7, first 2 shown]
	v_add_nc_u32_e32 v124, s59, v105
	v_dot2c_f32_f16 v60, v121, v134
	v_dot2c_f32_f16 v49, v122, v134
	;; [unrolled: 1-line block ×4, first 2 shown]
	v_add_nc_u32_e32 v10, v124, v10
	v_dot2c_f32_f16 v47, v123, v134
	v_dot2c_f32_f16 v78, v123, v135
	;; [unrolled: 1-line block ×9, first 2 shown]
	v_cndmask_b32_e64 v134, 0, v8, s1
	v_add_nc_u32_e32 v8, v24, v118
	v_lshrrev_b32_e32 v123, s46, v10
	v_dot2c_f32_f16 v88, v121, v131
	v_dot2c_f32_f16 v84, v122, v131
	;; [unrolled: 1-line block ×11, first 2 shown]
	v_cndmask_b32_e64 v131, 0, v11, s1
	v_lshrrev_b32_e32 v11, s46, v8
	v_mul_lo_u32 v122, s76, v123
	v_dot2c_f32_f16 v61, v121, v133
	v_dot2c_f32_f16 v26, v139, v133
	;; [unrolled: 1-line block ×5, first 2 shown]
	v_cndmask_b32_e64 v133, 0, v9, s1
	v_mad_u64_u32 v[8:9], null, s76, v11, v[24:25]
	v_add_nc_u32_e32 v10, v124, v122
	v_cmp_gt_i32_e64 s1, s71, v16
	v_dot2c_f32_f16 v86, v121, v135
	v_dot2c_f32_f16 v85, v121, v136
	;; [unrolled: 1-line block ×4, first 2 shown]
	v_sub_nc_u32_e32 v9, v8, v17
	v_sub_nc_u32_e32 v8, v10, v8
	v_mul_hi_u32 v10, v11, s60
	v_dot2c_f32_f16 v70, v139, v135
	v_dot2c_f32_f16 v69, v139, v136
	v_mul_lo_u32 v9, v9, s70
	v_mul_lo_u32 v8, v8, s70
	v_dot2c_f32_f16 v28, v139, v137
	v_dot2c_f32_f16 v27, v139, v138
	;; [unrolled: 1-line block ×3, first 2 shown]
	v_add_nc_u32_e32 v10, v11, v10
	v_dot2c_f32_f16 v63, v140, v136
	v_dot2c_f32_f16 v30, v140, v137
	;; [unrolled: 1-line block ×4, first 2 shown]
	v_lshrrev_b32_e32 v10, s45, v10
	v_dot2c_f32_f16 v56, v141, v136
	v_dot2c_f32_f16 v36, v141, v137
	;; [unrolled: 1-line block ×4, first 2 shown]
	v_mul_lo_u32 v16, v10, s13
	v_dot2c_f32_f16 v62, v142, v136
	v_dot2c_f32_f16 v37, v142, v137
	;; [unrolled: 1-line block ×3, first 2 shown]
	v_add_nc_u32_e32 v110, s75, v110
	s_add_i32 s59, s59, s75
	v_sub_nc_u32_e32 v11, v11, v16
	v_mul_hi_u32 v16, v10, s16
	v_sub_nc_u32_e32 v17, v11, v125
	v_add_nc_u32_e32 v16, v10, v16
	v_mul_lo_u32 v127, v17, s68
	v_lshrrev_b32_e32 v16, s44, v16
	v_mul_lo_u32 v17, v127, s31
	v_sub_nc_u32_e32 v118, v16, v119
	v_mul_lo_u32 v128, v118, s42
	v_mul_lo_u32 v118, v128, s29
	v_add3_u32 v9, v17, v9, v118
	v_mul_hi_u32 v17, v123, s60
	v_add_nc_u32_e32 v17, v123, v17
	v_lshrrev_b32_e32 v17, s45, v17
	v_mul_hi_u32 v118, v17, s16
	v_mul_lo_u32 v119, v17, s13
	v_add_nc_u32_e32 v118, v17, v118
	v_sub_nc_u32_e32 v119, v123, v119
	v_lshrrev_b32_e32 v118, s44, v118
	v_sub_nc_u32_e32 v11, v119, v11
	v_mul_lo_u32 v125, v11, s68
	v_sub_nc_u32_e32 v11, v118, v16
	v_mul_lo_u32 v126, v11, s42
	v_mul_lo_u32 v11, v125, s31
	;; [unrolled: 1-line block ×3, first 2 shown]
	v_add3_u32 v8, v11, v8, v121
	v_mul_lo_u32 v11, v16, s12
	v_add_nc_u32_e32 v16, v130, v116
	v_cmp_le_i32_e64 s7, s65, v16
	v_cmp_gt_i32_e64 s8, s37, v16
	v_sub_nc_u32_e32 v10, v10, v11
	v_add_nc_u32_e32 v116, v21, v16
	v_add_nc_u32_e32 v16, v19, v117
	s_and_b32 s7, s7, s8
	v_sub_nc_u32_e32 v11, v10, v129
	v_add_nc_u32_e32 v130, v18, v16
	v_mul_lo_u32 v129, v11, s62
	v_mul_lo_u32 v11, v129, s30
	v_add3_u32 v9, v9, v11, v120
	v_add_nc_u32_e32 v11, v23, v115
	v_cmp_le_i32_e64 s3, s53, v11
	v_cmp_gt_i32_e64 s6, s43, v11
	v_add_nc_u32_e32 v115, v22, v11
	v_mul_lo_u32 v11, v118, s12
	s_and_b32 s9, s6, s2
	v_cmp_gt_i32_e64 s6, s43, v115
	v_cmp_le_i32_e64 s2, s53, v115
	s_and_b32 s10, s9, s3
	v_cmp_le_i32_e64 s3, s65, v116
	v_sub_nc_u32_e32 v120, v17, v11
	v_add_nc_u32_e32 v11, v107, v114
	s_and_b32 s1, s6, s1
	v_add_nc_u32_e32 v17, v106, v114
	s_and_b32 s6, s1, s2
	v_sub_nc_u32_e32 v10, v120, v10
	v_cmp_le_i32_e64 s1, s11, v16
	v_cmp_gt_i32_e64 s2, s17, v16
	v_lshlrev_b32_e32 v16, 1, v9
	v_cmp_gt_i32_e64 s9, s37, v116
	v_mul_lo_u32 v117, v10, s62
	v_add_nc_u32_e32 v115, v127, v115
	s_and_b32 s8, s1, s2
	v_cmp_le_i32_e64 s1, s11, v130
	v_cmp_gt_i32_e64 s2, s17, v130
	s_and_b32 s3, s3, s9
	s_and_b32 s8, s10, s8
	v_add_nc_u32_e32 v130, v129, v130
	v_mul_lo_u32 v10, v117, s30
	s_and_b32 s1, s1, s2
	s_and_b32 s7, s7, s8
	;; [unrolled: 1-line block ×3, first 2 shown]
	v_add_nc_u32_e32 v116, v128, v116
	s_and_b32 s2, s3, s1
	s_and_b32 s1, vcc_lo, s7
	s_and_b32 s2, vcc_lo, s2
	v_add3_u32 v121, v8, v10, v9
	buffer_load_dwordx4 v[8:11], v11, s[48:51], 0 offen
	ds_write2st64_b32 v93, v14, v15 offset0:100 offset1:102
	ds_write2st64_b32 v93, v134, v133 offset0:104 offset1:106
	buffer_load_dwordx4 v[12:15], v17, s[48:51], 0 offen
	s_waitcnt vmcnt(3)
	v_cndmask_b32_e64 v18, 0, v7, s1
	v_cndmask_b32_e64 v19, 0, v6, s1
	;; [unrolled: 1-line block ×4, first 2 shown]
	s_waitcnt vmcnt(2)
	v_cndmask_b32_e64 v22, 0, v1, s2
	v_cndmask_b32_e64 v23, 0, v0, s2
	v_lshlrev_b32_e32 v0, 1, v121
	v_cndmask_b32_e64 v20, 0, v3, s2
	v_cndmask_b32_e64 v21, 0, v2, s2
	ds_write2st64_b32 v93, v132, v131 offset0:108 offset1:110
	ds_write2st64_b32 v93, v4, v5 offset0:32 offset1:34
	s_clause 0x1
	buffer_load_dwordx4 v[4:7], v16, s[20:23], 0 offen
	buffer_load_dwordx4 v[0:3], v0, s[20:23], 0 offen
	ds_write2st64_b32 v93, v19, v18 offset0:36 offset1:38
	ds_write2st64_b32 v93, v23, v22 offset0:40 offset1:42
	;; [unrolled: 1-line block ×3, first 2 shown]
	s_waitcnt lgkmcnt(0)
	s_barrier
	ds_read_b128 v[16:19], v89 offset:8192
	ds_read_b128 v[20:23], v90 offset:24576
	;; [unrolled: 1-line block ×4, first 2 shown]
	v_cmp_gt_i32_e64 s1, s55, v99
	v_cmp_gt_i32_e64 s2, s43, v115
	v_cmp_le_i32_e64 s3, s53, v115
	v_cmp_le_i32_e64 s6, s65, v116
	v_cmp_gt_i32_e64 s7, s37, v116
	s_and_b32 s1, s0, s1
	v_add_nc_u32_e32 v115, v125, v115
	v_add_nc_u32_e32 v117, v117, v130
	;; [unrolled: 1-line block ×3, first 2 shown]
	s_and_b32 s6, s6, s7
	v_add_nc_u32_e32 v99, s56, v99
	v_add_nc_u32_e32 v114, s58, v114
	v_cmp_gt_i32_e64 s7, s37, v116
	s_waitcnt lgkmcnt(2)
	v_dot2c_f32_f16 v88, v16, v20
	v_dot2c_f32_f16 v87, v16, v21
	v_dot2c_f32_f16 v61, v16, v22
	v_dot2c_f32_f16 v60, v16, v23
	v_dot2c_f32_f16 v84, v17, v20
	v_dot2c_f32_f16 v83, v17, v21
	v_dot2c_f32_f16 v50, v17, v22
	v_dot2c_f32_f16 v49, v17, v23
	v_dot2c_f32_f16 v80, v18, v20
	v_dot2c_f32_f16 v79, v18, v21
	v_dot2c_f32_f16 v48, v18, v22
	v_dot2c_f32_f16 v47, v18, v23
	v_dot2c_f32_f16 v76, v19, v20
	v_dot2c_f32_f16 v75, v19, v21
	v_dot2c_f32_f16 v42, v19, v22
	v_dot2c_f32_f16 v41, v19, v23
	s_waitcnt lgkmcnt(1)
	v_dot2c_f32_f16 v86, v16, v131
	v_dot2c_f32_f16 v85, v16, v132
	v_dot2c_f32_f16 v54, v16, v133
	v_dot2c_f32_f16 v53, v16, v134
	v_dot2c_f32_f16 v82, v17, v131
	v_dot2c_f32_f16 v81, v17, v132
	v_dot2c_f32_f16 v51, v17, v133
	v_dot2c_f32_f16 v52, v17, v134
	v_dot2c_f32_f16 v78, v18, v131
	v_dot2c_f32_f16 v77, v18, v132
	v_dot2c_f32_f16 v45, v18, v133
	v_dot2c_f32_f16 v46, v18, v134
	v_dot2c_f32_f16 v74, v19, v131
	v_dot2c_f32_f16 v73, v19, v132
	v_dot2c_f32_f16 v43, v19, v133
	v_dot2c_f32_f16 v44, v19, v134
	;; [unrolled: 17-line block ×3, first 2 shown]
	v_dot2c_f32_f16 v70, v135, v131
	v_dot2c_f32_f16 v69, v135, v132
	;; [unrolled: 1-line block ×16, first 2 shown]
	ds_read_b128 v[16:19], v89 offset:8704
	ds_read_b128 v[20:23], v90 offset:25088
	;; [unrolled: 1-line block ×4, first 2 shown]
	s_waitcnt lgkmcnt(2)
	v_dot2c_f32_f16 v88, v16, v20
	v_dot2c_f32_f16 v87, v16, v21
	v_dot2c_f32_f16 v61, v16, v22
	v_dot2c_f32_f16 v60, v16, v23
	v_dot2c_f32_f16 v84, v17, v20
	v_dot2c_f32_f16 v83, v17, v21
	v_dot2c_f32_f16 v50, v17, v22
	v_dot2c_f32_f16 v49, v17, v23
	v_dot2c_f32_f16 v80, v18, v20
	v_dot2c_f32_f16 v79, v18, v21
	v_dot2c_f32_f16 v48, v18, v22
	v_dot2c_f32_f16 v47, v18, v23
	v_dot2c_f32_f16 v76, v19, v20
	v_dot2c_f32_f16 v75, v19, v21
	v_dot2c_f32_f16 v42, v19, v22
	v_dot2c_f32_f16 v41, v19, v23
	s_waitcnt lgkmcnt(1)
	v_dot2c_f32_f16 v86, v16, v131
	v_dot2c_f32_f16 v85, v16, v132
	v_dot2c_f32_f16 v54, v16, v133
	v_dot2c_f32_f16 v53, v16, v134
	v_dot2c_f32_f16 v82, v17, v131
	v_dot2c_f32_f16 v81, v17, v132
	v_dot2c_f32_f16 v51, v17, v133
	v_dot2c_f32_f16 v52, v17, v134
	v_dot2c_f32_f16 v78, v18, v131
	v_dot2c_f32_f16 v77, v18, v132
	v_dot2c_f32_f16 v45, v18, v133
	v_dot2c_f32_f16 v46, v18, v134
	v_dot2c_f32_f16 v74, v19, v131
	v_dot2c_f32_f16 v73, v19, v132
	v_dot2c_f32_f16 v43, v19, v133
	v_dot2c_f32_f16 v44, v19, v134
	;; [unrolled: 17-line block ×3, first 2 shown]
	v_dot2c_f32_f16 v70, v135, v131
	v_dot2c_f32_f16 v69, v135, v132
	;; [unrolled: 1-line block ×16, first 2 shown]
	ds_read_b128 v[16:19], v89 offset:9216
	ds_read_b128 v[20:23], v90 offset:25600
	;; [unrolled: 1-line block ×4, first 2 shown]
	s_waitcnt lgkmcnt(2)
	v_dot2c_f32_f16 v88, v16, v20
	v_dot2c_f32_f16 v87, v16, v21
	v_dot2c_f32_f16 v61, v16, v22
	v_dot2c_f32_f16 v60, v16, v23
	v_dot2c_f32_f16 v84, v17, v20
	v_dot2c_f32_f16 v83, v17, v21
	v_dot2c_f32_f16 v50, v17, v22
	v_dot2c_f32_f16 v49, v17, v23
	v_dot2c_f32_f16 v80, v18, v20
	v_dot2c_f32_f16 v79, v18, v21
	v_dot2c_f32_f16 v48, v18, v22
	v_dot2c_f32_f16 v47, v18, v23
	v_dot2c_f32_f16 v76, v19, v20
	v_dot2c_f32_f16 v75, v19, v21
	v_dot2c_f32_f16 v42, v19, v22
	v_dot2c_f32_f16 v41, v19, v23
	s_waitcnt lgkmcnt(1)
	v_dot2c_f32_f16 v86, v16, v131
	v_dot2c_f32_f16 v85, v16, v132
	v_dot2c_f32_f16 v54, v16, v133
	v_dot2c_f32_f16 v53, v16, v134
	v_dot2c_f32_f16 v82, v17, v131
	v_dot2c_f32_f16 v81, v17, v132
	v_dot2c_f32_f16 v51, v17, v133
	v_dot2c_f32_f16 v52, v17, v134
	v_dot2c_f32_f16 v78, v18, v131
	v_dot2c_f32_f16 v77, v18, v132
	v_dot2c_f32_f16 v45, v18, v133
	v_dot2c_f32_f16 v46, v18, v134
	v_dot2c_f32_f16 v74, v19, v131
	v_dot2c_f32_f16 v73, v19, v132
	v_dot2c_f32_f16 v43, v19, v133
	v_dot2c_f32_f16 v44, v19, v134
	s_waitcnt lgkmcnt(0)
	v_dot2c_f32_f16 v72, v135, v20
	v_dot2c_f32_f16 v71, v135, v21
	v_dot2c_f32_f16 v26, v135, v22
	v_dot2c_f32_f16 v25, v135, v23
	v_dot2c_f32_f16 v67, v136, v20
	v_dot2c_f32_f16 v66, v136, v21
	v_dot2c_f32_f16 v32, v136, v22
	v_dot2c_f32_f16 v31, v136, v23
	v_dot2c_f32_f16 v59, v137, v20
	v_dot2c_f32_f16 v58, v137, v21
	v_dot2c_f32_f16 v34, v137, v22
	v_dot2c_f32_f16 v33, v137, v23
	v_dot2c_f32_f16 v55, v138, v20
	v_dot2c_f32_f16 v68, v138, v21
	v_dot2c_f32_f16 v39, v138, v22
	v_dot2c_f32_f16 v40, v138, v23
	v_dot2c_f32_f16 v70, v135, v131
	v_dot2c_f32_f16 v69, v135, v132
	;; [unrolled: 1-line block ×16, first 2 shown]
	ds_read_b128 v[16:19], v89 offset:9728
	ds_read_b128 v[20:23], v90 offset:26112
	;; [unrolled: 1-line block ×4, first 2 shown]
	s_waitcnt lgkmcnt(2)
	v_dot2c_f32_f16 v88, v16, v20
	v_dot2c_f32_f16 v87, v16, v21
	v_dot2c_f32_f16 v61, v16, v22
	v_dot2c_f32_f16 v60, v16, v23
	v_dot2c_f32_f16 v84, v17, v20
	v_dot2c_f32_f16 v83, v17, v21
	v_dot2c_f32_f16 v50, v17, v22
	v_dot2c_f32_f16 v49, v17, v23
	v_dot2c_f32_f16 v80, v18, v20
	v_dot2c_f32_f16 v79, v18, v21
	v_dot2c_f32_f16 v48, v18, v22
	v_dot2c_f32_f16 v47, v18, v23
	v_dot2c_f32_f16 v76, v19, v20
	v_dot2c_f32_f16 v75, v19, v21
	v_dot2c_f32_f16 v42, v19, v22
	v_dot2c_f32_f16 v41, v19, v23
	s_waitcnt lgkmcnt(1)
	v_dot2c_f32_f16 v86, v16, v131
	v_dot2c_f32_f16 v85, v16, v132
	v_dot2c_f32_f16 v54, v16, v133
	v_dot2c_f32_f16 v53, v16, v134
	v_dot2c_f32_f16 v82, v17, v131
	v_dot2c_f32_f16 v81, v17, v132
	v_dot2c_f32_f16 v51, v17, v133
	v_dot2c_f32_f16 v52, v17, v134
	v_dot2c_f32_f16 v78, v18, v131
	v_dot2c_f32_f16 v77, v18, v132
	v_dot2c_f32_f16 v45, v18, v133
	v_dot2c_f32_f16 v46, v18, v134
	v_dot2c_f32_f16 v74, v19, v131
	v_dot2c_f32_f16 v73, v19, v132
	v_dot2c_f32_f16 v43, v19, v133
	v_dot2c_f32_f16 v44, v19, v134
	;; [unrolled: 17-line block ×3, first 2 shown]
	v_dot2c_f32_f16 v70, v135, v131
	v_dot2c_f32_f16 v69, v135, v132
	;; [unrolled: 1-line block ×16, first 2 shown]
	ds_read_b128 v[16:19], v89 offset:10240
	ds_read_b128 v[20:23], v90 offset:26624
	ds_read_b128 v[131:134], v90 offset:26880
	ds_read_b128 v[135:138], v89 offset:10496
	s_waitcnt lgkmcnt(2)
	v_dot2c_f32_f16 v88, v16, v20
	v_dot2c_f32_f16 v87, v16, v21
	v_dot2c_f32_f16 v61, v16, v22
	v_dot2c_f32_f16 v60, v16, v23
	v_dot2c_f32_f16 v84, v17, v20
	v_dot2c_f32_f16 v83, v17, v21
	v_dot2c_f32_f16 v50, v17, v22
	v_dot2c_f32_f16 v49, v17, v23
	v_dot2c_f32_f16 v80, v18, v20
	v_dot2c_f32_f16 v79, v18, v21
	v_dot2c_f32_f16 v48, v18, v22
	v_dot2c_f32_f16 v47, v18, v23
	v_dot2c_f32_f16 v76, v19, v20
	v_dot2c_f32_f16 v75, v19, v21
	v_dot2c_f32_f16 v42, v19, v22
	v_dot2c_f32_f16 v41, v19, v23
	s_waitcnt lgkmcnt(1)
	v_dot2c_f32_f16 v86, v16, v131
	v_dot2c_f32_f16 v85, v16, v132
	v_dot2c_f32_f16 v54, v16, v133
	v_dot2c_f32_f16 v53, v16, v134
	v_dot2c_f32_f16 v82, v17, v131
	v_dot2c_f32_f16 v81, v17, v132
	v_dot2c_f32_f16 v51, v17, v133
	v_dot2c_f32_f16 v52, v17, v134
	v_dot2c_f32_f16 v78, v18, v131
	v_dot2c_f32_f16 v77, v18, v132
	v_dot2c_f32_f16 v45, v18, v133
	v_dot2c_f32_f16 v46, v18, v134
	v_dot2c_f32_f16 v74, v19, v131
	v_dot2c_f32_f16 v73, v19, v132
	v_dot2c_f32_f16 v43, v19, v133
	v_dot2c_f32_f16 v44, v19, v134
	;; [unrolled: 17-line block ×3, first 2 shown]
	v_dot2c_f32_f16 v70, v135, v131
	v_dot2c_f32_f16 v69, v135, v132
	;; [unrolled: 1-line block ×16, first 2 shown]
	ds_read_b128 v[16:19], v89 offset:10752
	ds_read_b128 v[20:23], v90 offset:27136
	;; [unrolled: 1-line block ×4, first 2 shown]
	s_waitcnt lgkmcnt(2)
	v_dot2c_f32_f16 v88, v16, v20
	v_dot2c_f32_f16 v87, v16, v21
	v_dot2c_f32_f16 v61, v16, v22
	v_dot2c_f32_f16 v60, v16, v23
	v_dot2c_f32_f16 v84, v17, v20
	v_dot2c_f32_f16 v83, v17, v21
	v_dot2c_f32_f16 v50, v17, v22
	v_dot2c_f32_f16 v49, v17, v23
	v_dot2c_f32_f16 v80, v18, v20
	v_dot2c_f32_f16 v79, v18, v21
	v_dot2c_f32_f16 v48, v18, v22
	v_dot2c_f32_f16 v47, v18, v23
	v_dot2c_f32_f16 v76, v19, v20
	v_dot2c_f32_f16 v75, v19, v21
	v_dot2c_f32_f16 v42, v19, v22
	v_dot2c_f32_f16 v41, v19, v23
	s_waitcnt lgkmcnt(1)
	v_dot2c_f32_f16 v86, v16, v131
	v_dot2c_f32_f16 v85, v16, v132
	v_dot2c_f32_f16 v54, v16, v133
	v_dot2c_f32_f16 v53, v16, v134
	v_dot2c_f32_f16 v82, v17, v131
	v_dot2c_f32_f16 v81, v17, v132
	v_dot2c_f32_f16 v51, v17, v133
	v_dot2c_f32_f16 v52, v17, v134
	v_dot2c_f32_f16 v78, v18, v131
	v_dot2c_f32_f16 v77, v18, v132
	v_dot2c_f32_f16 v45, v18, v133
	v_dot2c_f32_f16 v46, v18, v134
	v_dot2c_f32_f16 v74, v19, v131
	v_dot2c_f32_f16 v73, v19, v132
	v_dot2c_f32_f16 v43, v19, v133
	v_dot2c_f32_f16 v44, v19, v134
	;; [unrolled: 17-line block ×3, first 2 shown]
	v_dot2c_f32_f16 v70, v135, v131
	v_dot2c_f32_f16 v69, v135, v132
	;; [unrolled: 1-line block ×16, first 2 shown]
	ds_read_b128 v[16:19], v89 offset:11264
	ds_read_b128 v[20:23], v90 offset:27648
	;; [unrolled: 1-line block ×4, first 2 shown]
	s_waitcnt lgkmcnt(2)
	v_dot2c_f32_f16 v88, v16, v20
	v_dot2c_f32_f16 v87, v16, v21
	v_dot2c_f32_f16 v61, v16, v22
	v_dot2c_f32_f16 v60, v16, v23
	v_dot2c_f32_f16 v84, v17, v20
	v_dot2c_f32_f16 v83, v17, v21
	v_dot2c_f32_f16 v50, v17, v22
	v_dot2c_f32_f16 v49, v17, v23
	v_dot2c_f32_f16 v80, v18, v20
	v_dot2c_f32_f16 v79, v18, v21
	v_dot2c_f32_f16 v48, v18, v22
	v_dot2c_f32_f16 v47, v18, v23
	v_dot2c_f32_f16 v76, v19, v20
	v_dot2c_f32_f16 v75, v19, v21
	v_dot2c_f32_f16 v42, v19, v22
	v_dot2c_f32_f16 v41, v19, v23
	s_waitcnt lgkmcnt(1)
	v_dot2c_f32_f16 v86, v16, v131
	v_dot2c_f32_f16 v85, v16, v132
	v_dot2c_f32_f16 v54, v16, v133
	v_dot2c_f32_f16 v53, v16, v134
	v_dot2c_f32_f16 v82, v17, v131
	v_dot2c_f32_f16 v81, v17, v132
	v_dot2c_f32_f16 v51, v17, v133
	v_dot2c_f32_f16 v52, v17, v134
	v_dot2c_f32_f16 v78, v18, v131
	v_dot2c_f32_f16 v77, v18, v132
	v_dot2c_f32_f16 v45, v18, v133
	v_dot2c_f32_f16 v46, v18, v134
	v_dot2c_f32_f16 v74, v19, v131
	v_dot2c_f32_f16 v73, v19, v132
	v_dot2c_f32_f16 v43, v19, v133
	v_dot2c_f32_f16 v44, v19, v134
	;; [unrolled: 17-line block ×3, first 2 shown]
	v_dot2c_f32_f16 v70, v135, v131
	v_dot2c_f32_f16 v69, v135, v132
	v_dot2c_f32_f16 v28, v135, v133
	v_dot2c_f32_f16 v27, v135, v134
	v_dot2c_f32_f16 v65, v136, v131
	v_dot2c_f32_f16 v63, v136, v132
	v_dot2c_f32_f16 v30, v136, v133
	v_dot2c_f32_f16 v29, v136, v134
	v_dot2c_f32_f16 v57, v137, v131
	v_dot2c_f32_f16 v56, v137, v132
	v_dot2c_f32_f16 v36, v137, v133
	v_dot2c_f32_f16 v35, v137, v134
	v_dot2c_f32_f16 v64, v138, v131
	v_dot2c_f32_f16 v62, v138, v132
	v_dot2c_f32_f16 v37, v138, v133
	v_dot2c_f32_f16 v38, v138, v134
	ds_read_b128 v[16:19], v89 offset:11776
	ds_read_b128 v[20:23], v90 offset:28160
	;; [unrolled: 1-line block ×4, first 2 shown]
	s_waitcnt lgkmcnt(2)
	v_dot2c_f32_f16 v88, v16, v20
	v_dot2c_f32_f16 v87, v16, v21
	v_dot2c_f32_f16 v61, v16, v22
	v_dot2c_f32_f16 v60, v16, v23
	v_dot2c_f32_f16 v84, v17, v20
	v_dot2c_f32_f16 v83, v17, v21
	v_dot2c_f32_f16 v50, v17, v22
	v_dot2c_f32_f16 v49, v17, v23
	v_dot2c_f32_f16 v80, v18, v20
	v_dot2c_f32_f16 v79, v18, v21
	v_dot2c_f32_f16 v48, v18, v22
	v_dot2c_f32_f16 v47, v18, v23
	v_dot2c_f32_f16 v76, v19, v20
	v_dot2c_f32_f16 v75, v19, v21
	v_dot2c_f32_f16 v42, v19, v22
	v_dot2c_f32_f16 v41, v19, v23
	s_waitcnt lgkmcnt(1)
	v_dot2c_f32_f16 v86, v16, v131
	v_dot2c_f32_f16 v85, v16, v132
	v_dot2c_f32_f16 v54, v16, v133
	v_dot2c_f32_f16 v53, v16, v134
	v_dot2c_f32_f16 v82, v17, v131
	v_dot2c_f32_f16 v81, v17, v132
	v_dot2c_f32_f16 v51, v17, v133
	v_dot2c_f32_f16 v52, v17, v134
	v_dot2c_f32_f16 v78, v18, v131
	v_dot2c_f32_f16 v77, v18, v132
	v_dot2c_f32_f16 v45, v18, v133
	v_dot2c_f32_f16 v46, v18, v134
	v_dot2c_f32_f16 v74, v19, v131
	v_dot2c_f32_f16 v73, v19, v132
	v_dot2c_f32_f16 v43, v19, v133
	v_dot2c_f32_f16 v44, v19, v134
	;; [unrolled: 17-line block ×3, first 2 shown]
	v_dot2c_f32_f16 v70, v135, v131
	v_dot2c_f32_f16 v69, v135, v132
	;; [unrolled: 1-line block ×16, first 2 shown]
	ds_read_b128 v[16:19], v89 offset:12288
	ds_read_b128 v[20:23], v90 offset:28672
	;; [unrolled: 1-line block ×4, first 2 shown]
	s_waitcnt lgkmcnt(2)
	v_dot2c_f32_f16 v88, v16, v20
	v_dot2c_f32_f16 v87, v16, v21
	v_dot2c_f32_f16 v61, v16, v22
	v_dot2c_f32_f16 v60, v16, v23
	v_dot2c_f32_f16 v84, v17, v20
	v_dot2c_f32_f16 v83, v17, v21
	v_dot2c_f32_f16 v50, v17, v22
	v_dot2c_f32_f16 v49, v17, v23
	v_dot2c_f32_f16 v80, v18, v20
	v_dot2c_f32_f16 v79, v18, v21
	v_dot2c_f32_f16 v48, v18, v22
	v_dot2c_f32_f16 v47, v18, v23
	v_dot2c_f32_f16 v76, v19, v20
	v_dot2c_f32_f16 v75, v19, v21
	v_dot2c_f32_f16 v42, v19, v22
	v_dot2c_f32_f16 v41, v19, v23
	s_waitcnt lgkmcnt(1)
	v_dot2c_f32_f16 v86, v16, v131
	v_dot2c_f32_f16 v85, v16, v132
	v_dot2c_f32_f16 v54, v16, v133
	v_dot2c_f32_f16 v53, v16, v134
	v_dot2c_f32_f16 v82, v17, v131
	v_dot2c_f32_f16 v81, v17, v132
	v_dot2c_f32_f16 v51, v17, v133
	v_dot2c_f32_f16 v52, v17, v134
	v_dot2c_f32_f16 v78, v18, v131
	v_dot2c_f32_f16 v77, v18, v132
	v_dot2c_f32_f16 v45, v18, v133
	v_dot2c_f32_f16 v46, v18, v134
	v_dot2c_f32_f16 v74, v19, v131
	v_dot2c_f32_f16 v73, v19, v132
	v_dot2c_f32_f16 v43, v19, v133
	v_dot2c_f32_f16 v44, v19, v134
	;; [unrolled: 17-line block ×3, first 2 shown]
	v_dot2c_f32_f16 v70, v135, v131
	v_dot2c_f32_f16 v69, v135, v132
	;; [unrolled: 1-line block ×16, first 2 shown]
	ds_read_b128 v[16:19], v89 offset:12800
	ds_read_b128 v[20:23], v90 offset:29184
	;; [unrolled: 1-line block ×4, first 2 shown]
	s_waitcnt lgkmcnt(2)
	v_dot2c_f32_f16 v88, v16, v20
	v_dot2c_f32_f16 v87, v16, v21
	v_dot2c_f32_f16 v61, v16, v22
	v_dot2c_f32_f16 v60, v16, v23
	v_dot2c_f32_f16 v84, v17, v20
	v_dot2c_f32_f16 v83, v17, v21
	v_dot2c_f32_f16 v50, v17, v22
	v_dot2c_f32_f16 v49, v17, v23
	v_dot2c_f32_f16 v80, v18, v20
	v_dot2c_f32_f16 v79, v18, v21
	v_dot2c_f32_f16 v48, v18, v22
	v_dot2c_f32_f16 v47, v18, v23
	v_dot2c_f32_f16 v76, v19, v20
	v_dot2c_f32_f16 v75, v19, v21
	v_dot2c_f32_f16 v42, v19, v22
	v_dot2c_f32_f16 v41, v19, v23
	s_waitcnt lgkmcnt(1)
	v_dot2c_f32_f16 v86, v16, v131
	v_dot2c_f32_f16 v85, v16, v132
	v_dot2c_f32_f16 v54, v16, v133
	v_dot2c_f32_f16 v53, v16, v134
	v_dot2c_f32_f16 v82, v17, v131
	v_dot2c_f32_f16 v81, v17, v132
	v_dot2c_f32_f16 v51, v17, v133
	v_dot2c_f32_f16 v52, v17, v134
	v_dot2c_f32_f16 v78, v18, v131
	v_dot2c_f32_f16 v77, v18, v132
	v_dot2c_f32_f16 v45, v18, v133
	v_dot2c_f32_f16 v46, v18, v134
	v_dot2c_f32_f16 v74, v19, v131
	v_dot2c_f32_f16 v73, v19, v132
	v_dot2c_f32_f16 v43, v19, v133
	v_dot2c_f32_f16 v44, v19, v134
	;; [unrolled: 17-line block ×3, first 2 shown]
	v_dot2c_f32_f16 v70, v135, v131
	v_dot2c_f32_f16 v69, v135, v132
	;; [unrolled: 1-line block ×16, first 2 shown]
	ds_read_b128 v[16:19], v89 offset:13312
	ds_read_b128 v[20:23], v90 offset:29696
	;; [unrolled: 1-line block ×4, first 2 shown]
	s_waitcnt lgkmcnt(2)
	v_dot2c_f32_f16 v88, v16, v20
	v_dot2c_f32_f16 v87, v16, v21
	v_dot2c_f32_f16 v61, v16, v22
	v_dot2c_f32_f16 v60, v16, v23
	v_dot2c_f32_f16 v84, v17, v20
	v_dot2c_f32_f16 v83, v17, v21
	v_dot2c_f32_f16 v50, v17, v22
	v_dot2c_f32_f16 v49, v17, v23
	v_dot2c_f32_f16 v80, v18, v20
	v_dot2c_f32_f16 v79, v18, v21
	v_dot2c_f32_f16 v48, v18, v22
	v_dot2c_f32_f16 v47, v18, v23
	v_dot2c_f32_f16 v76, v19, v20
	v_dot2c_f32_f16 v75, v19, v21
	v_dot2c_f32_f16 v42, v19, v22
	v_dot2c_f32_f16 v41, v19, v23
	s_waitcnt lgkmcnt(1)
	v_dot2c_f32_f16 v86, v16, v131
	v_dot2c_f32_f16 v85, v16, v132
	v_dot2c_f32_f16 v54, v16, v133
	v_dot2c_f32_f16 v53, v16, v134
	v_dot2c_f32_f16 v82, v17, v131
	v_dot2c_f32_f16 v81, v17, v132
	v_dot2c_f32_f16 v51, v17, v133
	v_dot2c_f32_f16 v52, v17, v134
	v_dot2c_f32_f16 v78, v18, v131
	v_dot2c_f32_f16 v77, v18, v132
	v_dot2c_f32_f16 v45, v18, v133
	v_dot2c_f32_f16 v46, v18, v134
	v_dot2c_f32_f16 v74, v19, v131
	v_dot2c_f32_f16 v73, v19, v132
	v_dot2c_f32_f16 v43, v19, v133
	v_dot2c_f32_f16 v44, v19, v134
	;; [unrolled: 17-line block ×3, first 2 shown]
	v_dot2c_f32_f16 v70, v135, v131
	v_dot2c_f32_f16 v69, v135, v132
	;; [unrolled: 1-line block ×16, first 2 shown]
	ds_read_b128 v[16:19], v89 offset:13824
	ds_read_b128 v[20:23], v90 offset:30208
	;; [unrolled: 1-line block ×4, first 2 shown]
	s_waitcnt lgkmcnt(2)
	v_dot2c_f32_f16 v88, v16, v20
	v_dot2c_f32_f16 v87, v16, v21
	v_dot2c_f32_f16 v61, v16, v22
	v_dot2c_f32_f16 v60, v16, v23
	v_dot2c_f32_f16 v84, v17, v20
	v_dot2c_f32_f16 v83, v17, v21
	v_dot2c_f32_f16 v50, v17, v22
	v_dot2c_f32_f16 v49, v17, v23
	v_dot2c_f32_f16 v80, v18, v20
	v_dot2c_f32_f16 v79, v18, v21
	v_dot2c_f32_f16 v48, v18, v22
	v_dot2c_f32_f16 v47, v18, v23
	v_dot2c_f32_f16 v76, v19, v20
	v_dot2c_f32_f16 v75, v19, v21
	v_dot2c_f32_f16 v42, v19, v22
	v_dot2c_f32_f16 v41, v19, v23
	s_waitcnt lgkmcnt(1)
	v_dot2c_f32_f16 v86, v16, v131
	v_dot2c_f32_f16 v85, v16, v132
	v_dot2c_f32_f16 v54, v16, v133
	v_dot2c_f32_f16 v53, v16, v134
	v_dot2c_f32_f16 v82, v17, v131
	v_dot2c_f32_f16 v81, v17, v132
	v_dot2c_f32_f16 v51, v17, v133
	v_dot2c_f32_f16 v52, v17, v134
	v_dot2c_f32_f16 v78, v18, v131
	v_dot2c_f32_f16 v77, v18, v132
	v_dot2c_f32_f16 v45, v18, v133
	v_dot2c_f32_f16 v46, v18, v134
	v_dot2c_f32_f16 v74, v19, v131
	v_dot2c_f32_f16 v73, v19, v132
	v_dot2c_f32_f16 v43, v19, v133
	v_dot2c_f32_f16 v44, v19, v134
	;; [unrolled: 17-line block ×3, first 2 shown]
	v_dot2c_f32_f16 v70, v135, v131
	v_dot2c_f32_f16 v69, v135, v132
	;; [unrolled: 1-line block ×16, first 2 shown]
	ds_read_b128 v[16:19], v89 offset:14336
	ds_read_b128 v[20:23], v90 offset:30720
	;; [unrolled: 1-line block ×4, first 2 shown]
	s_waitcnt lgkmcnt(2)
	v_dot2c_f32_f16 v88, v16, v20
	v_dot2c_f32_f16 v87, v16, v21
	v_dot2c_f32_f16 v61, v16, v22
	v_dot2c_f32_f16 v60, v16, v23
	v_dot2c_f32_f16 v84, v17, v20
	v_dot2c_f32_f16 v83, v17, v21
	v_dot2c_f32_f16 v50, v17, v22
	v_dot2c_f32_f16 v49, v17, v23
	v_dot2c_f32_f16 v80, v18, v20
	v_dot2c_f32_f16 v79, v18, v21
	v_dot2c_f32_f16 v48, v18, v22
	v_dot2c_f32_f16 v47, v18, v23
	v_dot2c_f32_f16 v76, v19, v20
	v_dot2c_f32_f16 v75, v19, v21
	v_dot2c_f32_f16 v42, v19, v22
	v_dot2c_f32_f16 v41, v19, v23
	s_waitcnt lgkmcnt(1)
	v_dot2c_f32_f16 v86, v16, v131
	v_dot2c_f32_f16 v85, v16, v132
	v_dot2c_f32_f16 v54, v16, v133
	v_dot2c_f32_f16 v53, v16, v134
	v_dot2c_f32_f16 v82, v17, v131
	v_dot2c_f32_f16 v81, v17, v132
	v_dot2c_f32_f16 v51, v17, v133
	v_dot2c_f32_f16 v52, v17, v134
	v_dot2c_f32_f16 v78, v18, v131
	v_dot2c_f32_f16 v77, v18, v132
	v_dot2c_f32_f16 v45, v18, v133
	v_dot2c_f32_f16 v46, v18, v134
	v_dot2c_f32_f16 v74, v19, v131
	v_dot2c_f32_f16 v73, v19, v132
	v_dot2c_f32_f16 v43, v19, v133
	v_dot2c_f32_f16 v44, v19, v134
	;; [unrolled: 17-line block ×3, first 2 shown]
	v_dot2c_f32_f16 v70, v135, v131
	v_dot2c_f32_f16 v69, v135, v132
	;; [unrolled: 1-line block ×16, first 2 shown]
	ds_read_b128 v[16:19], v89 offset:14848
	ds_read_b128 v[20:23], v90 offset:31232
	;; [unrolled: 1-line block ×4, first 2 shown]
	s_waitcnt lgkmcnt(2)
	v_dot2c_f32_f16 v88, v16, v20
	v_dot2c_f32_f16 v87, v16, v21
	v_dot2c_f32_f16 v61, v16, v22
	v_dot2c_f32_f16 v60, v16, v23
	v_dot2c_f32_f16 v84, v17, v20
	v_dot2c_f32_f16 v83, v17, v21
	v_dot2c_f32_f16 v50, v17, v22
	v_dot2c_f32_f16 v49, v17, v23
	v_dot2c_f32_f16 v80, v18, v20
	v_dot2c_f32_f16 v79, v18, v21
	v_dot2c_f32_f16 v48, v18, v22
	v_dot2c_f32_f16 v47, v18, v23
	v_dot2c_f32_f16 v76, v19, v20
	v_dot2c_f32_f16 v75, v19, v21
	v_dot2c_f32_f16 v42, v19, v22
	v_dot2c_f32_f16 v41, v19, v23
	s_waitcnt lgkmcnt(1)
	v_dot2c_f32_f16 v86, v16, v131
	v_dot2c_f32_f16 v85, v16, v132
	v_dot2c_f32_f16 v54, v16, v133
	v_dot2c_f32_f16 v53, v16, v134
	v_dot2c_f32_f16 v82, v17, v131
	v_dot2c_f32_f16 v81, v17, v132
	v_dot2c_f32_f16 v51, v17, v133
	v_dot2c_f32_f16 v52, v17, v134
	v_dot2c_f32_f16 v78, v18, v131
	v_dot2c_f32_f16 v77, v18, v132
	v_dot2c_f32_f16 v45, v18, v133
	v_dot2c_f32_f16 v46, v18, v134
	v_dot2c_f32_f16 v74, v19, v131
	v_dot2c_f32_f16 v73, v19, v132
	v_dot2c_f32_f16 v43, v19, v133
	v_dot2c_f32_f16 v44, v19, v134
	;; [unrolled: 17-line block ×3, first 2 shown]
	v_dot2c_f32_f16 v70, v135, v131
	v_dot2c_f32_f16 v69, v135, v132
	;; [unrolled: 1-line block ×16, first 2 shown]
	ds_read_b128 v[131:134], v89 offset:15360
	ds_read_b128 v[135:138], v90 offset:31744
	;; [unrolled: 1-line block ×4, first 2 shown]
	s_waitcnt lgkmcnt(2)
	v_dot2c_f32_f16 v88, v131, v135
	v_dot2c_f32_f16 v87, v131, v136
	;; [unrolled: 1-line block ×16, first 2 shown]
	s_waitcnt lgkmcnt(0)
	v_dot2c_f32_f16 v72, v20, v135
	v_dot2c_f32_f16 v71, v20, v136
	;; [unrolled: 1-line block ×16, first 2 shown]
	s_waitcnt vmcnt(3)
	v_cndmask_b32_e64 v135, 0, v11, s1
	v_cndmask_b32_e64 v136, 0, v10, s1
	;; [unrolled: 1-line block ×4, first 2 shown]
	v_cmp_gt_i32_e64 s1, s55, v98
	v_dot2c_f32_f16 v86, v131, v16
	v_dot2c_f32_f16 v85, v131, v17
	v_dot2c_f32_f16 v54, v131, v18
	v_dot2c_f32_f16 v53, v131, v19
	s_and_b32 s1, s0, s1
	v_dot2c_f32_f16 v82, v132, v16
	v_dot2c_f32_f16 v81, v132, v17
	v_dot2c_f32_f16 v51, v132, v18
	v_dot2c_f32_f16 v52, v132, v19
	v_dot2c_f32_f16 v78, v133, v16
	v_dot2c_f32_f16 v77, v133, v17
	v_dot2c_f32_f16 v45, v133, v18
	v_dot2c_f32_f16 v46, v133, v19
	v_dot2c_f32_f16 v74, v134, v16
	v_dot2c_f32_f16 v73, v134, v17
	v_dot2c_f32_f16 v43, v134, v18
	v_dot2c_f32_f16 v44, v134, v19
	s_waitcnt vmcnt(2)
	v_cndmask_b32_e64 v131, 0, v15, s1
	v_cndmask_b32_e64 v132, 0, v14, s1
	;; [unrolled: 1-line block ×4, first 2 shown]
	v_cmp_gt_i32_e64 s1, s71, v24
	v_dot2c_f32_f16 v70, v20, v16
	v_dot2c_f32_f16 v69, v20, v17
	;; [unrolled: 1-line block ×4, first 2 shown]
	s_and_b32 s1, s2, s1
	v_cmp_gt_i32_e64 s2, s17, v130
	s_and_b32 s3, s1, s3
	v_cmp_le_i32_e64 s1, s11, v130
	v_dot2c_f32_f16 v65, v21, v16
	v_dot2c_f32_f16 v63, v21, v17
	;; [unrolled: 1-line block ×4, first 2 shown]
	s_and_b32 s1, s1, s2
	v_dot2c_f32_f16 v57, v22, v16
	s_and_b32 s1, s3, s1
	v_dot2c_f32_f16 v56, v22, v17
	;; [unrolled: 2-line block ×3, first 2 shown]
	s_and_b32 s1, vcc_lo, s1
	v_dot2c_f32_f16 v35, v22, v19
	s_waitcnt vmcnt(1)
	v_cndmask_b32_e64 v24, 0, v7, s1
	v_cndmask_b32_e64 v127, 0, v6, s1
	;; [unrolled: 1-line block ×4, first 2 shown]
	v_dot2c_f32_f16 v64, v23, v16
	v_dot2c_f32_f16 v62, v23, v17
	;; [unrolled: 1-line block ×4, first 2 shown]
	ds_read_b128 v[12:15], v90 offset:32256
	ds_read_b128 v[4:7], v90 offset:32512
	;; [unrolled: 1-line block ×4, first 2 shown]
	s_add_i32 s2, s52, s63
	v_cmp_gt_i32_e64 s1, s71, v124
	s_add_i32 s3, s57, s61
	v_add3_u32 v96, s2, s2, v96
	v_cmp_gt_i32_e64 s2, s43, v115
	v_add3_u32 v97, s3, s3, v97
	v_cmp_le_i32_e64 s3, s53, v115
	v_cmp_le_i32_e64 s6, s65, v116
	v_mul_lo_u32 v20, v123, s14
	s_and_b32 s1, s2, s1
	v_cmp_gt_i32_e64 s2, s17, v117
	s_and_b32 s3, s1, s3
	v_cmp_le_i32_e64 s1, s11, v117
	s_and_b32 s6, s6, s7
	v_add_nc_u32_e32 v98, s56, v98
	ds_write2st64_b32 v93, v138, v137 offset0:64 offset1:66
	ds_write2st64_b32 v93, v136, v135 offset0:68 offset1:70
	v_sub_nc_u32_e32 v21, v96, v20
	s_and_b32 s1, s1, s2
	s_waitcnt lgkmcnt(3)
	v_dot2c_f32_f16 v88, v16, v12
	s_and_b32 s1, s3, s1
	v_dot2c_f32_f16 v87, v16, v13
	s_and_b32 s1, s6, s1
	v_dot2c_f32_f16 v61, v16, v14
	s_and_b32 s1, vcc_lo, s1
	v_dot2c_f32_f16 v60, v16, v15
	v_dot2c_f32_f16 v84, v17, v12
	;; [unrolled: 1-line block ×29, first 2 shown]
	s_waitcnt lgkmcnt(2)
	v_dot2c_f32_f16 v72, v8, v12
	v_dot2c_f32_f16 v71, v8, v13
	;; [unrolled: 1-line block ×32, first 2 shown]
	s_waitcnt vmcnt(0)
	v_cndmask_b32_e64 v1, 0, v1, s1
	v_cndmask_b32_e64 v0, 0, v0, s1
	s_cmp_lt_i32 s69, s54
	v_cndmask_b32_e64 v3, 0, v3, s1
	v_cndmask_b32_e64 v2, 0, v2, s1
	ds_write2st64_b32 v93, v134, v133 offset0:72 offset1:74
	ds_write2st64_b32 v93, v132, v131 offset0:76 offset1:78
	ds_write2st64_b32 v93, v129, v128 offset1:2
	ds_write2st64_b32 v93, v127, v24 offset0:4 offset1:6
	ds_write2st64_b32 v93, v0, v1 offset0:8 offset1:10
	;; [unrolled: 1-line block ×3, first 2 shown]
	s_cbranch_scc1 .LBB9_1
; %bb.2:
	v_add_nc_u32_e32 v0, 4, v95
	v_add_nc_u32_e32 v95, s61, v97
	s_waitcnt lgkmcnt(0)
	s_barrier
	ds_read_b128 v[102:105], v90 offset:16384
	ds_read_b128 v[106:109], v90 offset:16640
	ds_read_b128 v[110:113], v89
	ds_read_b128 v[123:126], v89 offset:256
	v_mul_lo_u32 v0, s74, v0
	v_add_nc_u32_e32 v2, v95, v94
	ds_read_b128 v[127:130], v90 offset:16896
	ds_read_b128 v[131:134], v90 offset:17152
	;; [unrolled: 1-line block ×6, first 2 shown]
	s_load_dwordx2 s[4:5], s[4:5], 0x10
	s_mul_i32 s3, s26, s73
	s_mul_hi_u32 s10, s26, s72
	v_add3_u32 v24, s63, s59, v0
	v_add3_u32 v11, v0, v122, s59
	s_mul_i32 s1, s27, s72
	s_add_i32 s3, s10, s3
	s_mul_i32 s2, s26, s72
	v_mul_hi_u32 v1, v24, s18
	v_add_nc_u32_e32 v96, s52, v24
	s_add_i32 s3, s3, s1
	s_mul_i32 s7, s24, s73
	s_mul_hi_u32 s8, s24, s72
	s_waitcnt lgkmcnt(0)
	v_dot2c_f32_f16 v88, v110, v102
	v_mul_hi_u32 v3, v96, s18
	v_dot2c_f32_f16 v87, v110, v103
	v_add_nc_u32_e32 v1, v24, v1
	v_dot2c_f32_f16 v61, v110, v104
	v_dot2c_f32_f16 v60, v110, v105
	;; [unrolled: 1-line block ×4, first 2 shown]
	v_lshrrev_b32_e32 v9, s46, v1
	v_add_nc_u32_e32 v10, v96, v3
	v_lshlrev_b32_e32 v1, 1, v2
	v_add_lshl_u32 v2, v2, s57, 1
	v_dot2c_f32_f16 v50, v111, v104
	v_mul_hi_u32 v8, v9, s60
	v_lshrrev_b32_e32 v13, s46, v10
	v_mul_lo_u32 v14, v9, s14
	s_clause 0x1
	buffer_load_dwordx4 v[4:7], v1, s[48:51], 0 offen
	buffer_load_dwordx4 v[0:3], v2, s[48:51], 0 offen
	v_dot2c_f32_f16 v49, v111, v105
	v_dot2c_f32_f16 v80, v112, v102
	v_mul_hi_u32 v10, v13, s60
	v_dot2c_f32_f16 v79, v112, v103
	v_add_nc_u32_e32 v8, v9, v8
	v_dot2c_f32_f16 v48, v112, v104
	v_dot2c_f32_f16 v47, v112, v105
	;; [unrolled: 1-line block ×4, first 2 shown]
	v_lshrrev_b32_e32 v12, s45, v8
	v_add_nc_u32_e32 v10, v13, v10
	v_dot2c_f32_f16 v42, v113, v104
	v_dot2c_f32_f16 v41, v113, v105
	;; [unrolled: 1-line block ×3, first 2 shown]
	v_mul_hi_u32 v8, v12, s16
	v_mul_lo_u32 v94, v12, s13
	v_lshrrev_b32_e32 v15, s45, v10
	v_dot2c_f32_f16 v85, v110, v107
	v_dot2c_f32_f16 v54, v110, v108
	;; [unrolled: 1-line block ×5, first 2 shown]
	v_add_nc_u32_e32 v10, v12, v8
	v_sub_nc_u32_e32 v8, v24, v14
	v_sub_nc_u32_e32 v9, v9, v94
	v_mul_hi_u32 v14, v15, s16
	v_dot2c_f32_f16 v51, v111, v108
	v_lshrrev_b32_e32 v97, s44, v10
	v_sub_nc_u32_e32 v98, v8, v11
	v_mad_u64_u32 v[10:11], null, v13, s14, v[8:9]
	v_sub_nc_u32_e32 v11, v9, v119
	v_mul_lo_u32 v94, v97, s12
	v_add_nc_u32_e32 v14, v15, v14
	v_mul_lo_u32 v114, v98, s70
	v_dot2c_f32_f16 v52, v111, v109
	v_mul_lo_u32 v101, v11, s68
	v_mad_u64_u32 v[8:9], null, v15, s13, v[9:10]
	v_lshrrev_b32_e32 v14, s44, v14
	v_sub_nc_u32_e32 v9, v12, v94
	v_sub_nc_u32_e32 v94, v97, v118
	v_dot2c_f32_f16 v78, v112, v106
	v_dot2c_f32_f16 v77, v112, v107
	v_dot2c_f32_f16 v45, v112, v108
	v_mad_u64_u32 v[11:12], null, v14, s12, v[9:10]
	v_sub_nc_u32_e32 v9, v9, v120
	v_mul_lo_u32 v98, v94, s42
	v_sub_nc_u32_e32 v10, v96, v10
	v_sub_nc_u32_e32 v12, v13, v8
	v_sub_nc_u32_e32 v13, v14, v97
	v_mul_lo_u32 v94, v9, s62
	v_sub_nc_u32_e32 v9, v15, v11
	v_mul_lo_u32 v8, v10, s70
	v_mul_lo_u32 v100, v12, s68
	;; [unrolled: 1-line block ×7, first 2 shown]
	v_dot2c_f32_f16 v46, v112, v109
	v_dot2c_f32_f16 v74, v113, v106
	v_mad_u64_u32 v[8:9], null, v100, s31, v[8:9]
	v_mul_lo_u32 v9, v99, s29
	v_mul_lo_u32 v12, v97, s30
	v_add3_u32 v11, v14, v114, v11
	v_dot2c_f32_f16 v73, v113, v107
	v_dot2c_f32_f16 v43, v113, v108
	;; [unrolled: 1-line block ×4, first 2 shown]
	v_add3_u32 v13, v11, v10, v121
	v_dot2c_f32_f16 v71, v123, v103
	v_add3_u32 v12, v8, v9, v12
	v_dot2c_f32_f16 v26, v123, v104
	v_dot2c_f32_f16 v25, v123, v105
	v_lshlrev_b32_e32 v10, 1, v13
	v_dot2c_f32_f16 v67, v124, v102
	v_add_lshl_u32 v12, v12, v13, 1
	v_dot2c_f32_f16 v66, v124, v103
	v_dot2c_f32_f16 v32, v124, v104
	buffer_load_dwordx4 v[8:11], v10, s[20:23], 0 offen
	v_dot2c_f32_f16 v31, v124, v105
	buffer_load_dwordx4 v[12:15], v12, s[20:23], 0 offen
	v_dot2c_f32_f16 v59, v125, v102
	v_dot2c_f32_f16 v58, v125, v103
	;; [unrolled: 1-line block ×8, first 2 shown]
	ds_read_b128 v[102:105], v89 offset:1024
	ds_read_b128 v[110:113], v89 offset:1280
	v_dot2c_f32_f16 v88, v135, v127
	v_dot2c_f32_f16 v84, v136, v127
	;; [unrolled: 1-line block ×8, first 2 shown]
	s_lshl_b64 s[12:13], s[2:3], 1
	s_mul_i32 s9, s25, s72
	s_add_u32 s12, s66, s12
	s_addc_u32 s13, s67, s13
	s_add_i32 s3, s8, s7
	s_mul_i32 s6, s24, s72
	s_add_i32 s7, s3, s9
	v_dot2c_f32_f16 v87, v135, v128
	v_dot2c_f32_f16 v83, v136, v128
	;; [unrolled: 1-line block ×3, first 2 shown]
	s_waitcnt lgkmcnt(1)
	v_dot2c_f32_f16 v88, v102, v16
	v_dot2c_f32_f16 v84, v103, v16
	;; [unrolled: 1-line block ×4, first 2 shown]
	s_waitcnt lgkmcnt(0)
	v_dot2c_f32_f16 v72, v110, v16
	v_dot2c_f32_f16 v67, v111, v16
	;; [unrolled: 1-line block ×4, first 2 shown]
	v_add_nc_u32_e32 v16, v101, v115
	v_dot2c_f32_f16 v75, v138, v128
	v_dot2c_f32_f16 v71, v139, v128
	v_dot2c_f32_f16 v66, v140, v128
	v_dot2c_f32_f16 v58, v141, v128
	v_dot2c_f32_f16 v68, v142, v128
	s_lshl_b64 s[6:7], s[6:7], 1
	v_cmp_gt_i32_e64 s3, s71, v24
	s_add_u32 s16, s4, s6
	s_addc_u32 s14, s5, s7
	v_cmp_gt_i32_e64 s5, s43, v16
	v_dot2c_f32_f16 v70, v123, v106
	v_dot2c_f32_f16 v69, v123, v107
	v_dot2c_f32_f16 v28, v123, v108
	v_dot2c_f32_f16 v27, v123, v109
	v_dot2c_f32_f16 v65, v124, v106
	v_dot2c_f32_f16 v63, v124, v107
	v_dot2c_f32_f16 v30, v124, v108
	v_dot2c_f32_f16 v29, v124, v109
	v_dot2c_f32_f16 v57, v125, v106
	v_dot2c_f32_f16 v56, v125, v107
	v_dot2c_f32_f16 v36, v125, v108
	v_dot2c_f32_f16 v35, v125, v109
	v_dot2c_f32_f16 v64, v126, v106
	v_dot2c_f32_f16 v62, v126, v107
	v_dot2c_f32_f16 v37, v126, v108
	v_dot2c_f32_f16 v38, v126, v109
	ds_read_b128 v[106:109], v90 offset:17920
	ds_read_b128 v[118:121], v90 offset:18176
	v_dot2c_f32_f16 v61, v135, v129
	v_dot2c_f32_f16 v60, v135, v130
	;; [unrolled: 1-line block ×28, first 2 shown]
	ds_read_b128 v[122:125], v89 offset:1536
	ds_read_b128 v[126:129], v89 offset:1792
	v_dot2c_f32_f16 v87, v102, v17
	v_dot2c_f32_f16 v83, v103, v17
	;; [unrolled: 1-line block ×8, first 2 shown]
	v_add_nc_u32_e32 v17, v98, v116
	v_cmp_le_i32_e64 s6, s53, v16
	v_add_nc_u32_e32 v16, v100, v16
	s_and_b32 s7, s5, s3
	v_dot2c_f32_f16 v25, v139, v130
	v_dot2c_f32_f16 v31, v140, v130
	;; [unrolled: 1-line block ×20, first 2 shown]
	ds_read_b128 v[130:133], v90 offset:18432
	ds_read_b128 v[134:137], v90 offset:18688
	v_dot2c_f32_f16 v61, v102, v18
	v_dot2c_f32_f16 v60, v102, v19
	;; [unrolled: 1-line block ×24, first 2 shown]
	ds_read_b128 v[102:105], v89 offset:2048
	ds_read_b128 v[138:141], v89 offset:2304
	v_cmp_gt_i32_e64 s4, s71, v96
	v_dot2c_f32_f16 v26, v110, v18
	v_dot2c_f32_f16 v32, v111, v18
	;; [unrolled: 1-line block ×4, first 2 shown]
	v_cmp_le_i32_e64 s3, s65, v17
	v_cmp_gt_i32_e64 s5, s37, v17
	v_add_nc_u32_e32 v17, v99, v17
	v_add_nc_u32_e32 v18, v94, v117
	s_and_b32 s18, s7, s6
	v_cmp_gt_i32_e64 s6, s43, v16
	v_add_nc_u32_e32 v114, s57, v95
	v_cmp_gt_i32_e64 s2, s55, v95
	v_dot2c_f32_f16 v25, v110, v19
	v_dot2c_f32_f16 v31, v111, v19
	;; [unrolled: 1-line block ×20, first 2 shown]
	v_cmp_le_i32_e64 s7, s53, v16
	v_cmp_le_i32_e64 s8, s65, v17
	v_add_nc_u32_e32 v16, v97, v18
	v_cmp_gt_i32_e64 s9, s37, v17
	s_and_b32 s20, s6, s4
	v_cmp_le_i32_e64 s4, s11, v18
	v_cmp_gt_i32_e64 s6, s17, v18
	ds_read_b128 v[17:20], v89 offset:2560
	ds_read_b128 v[98:101], v89 offset:2816
	;; [unrolled: 1-line block ×4, first 2 shown]
	s_waitcnt lgkmcnt(9)
	v_dot2c_f32_f16 v88, v122, v106
	v_dot2c_f32_f16 v87, v122, v107
	v_dot2c_f32_f16 v61, v122, v108
	v_dot2c_f32_f16 v60, v122, v109
	v_dot2c_f32_f16 v84, v123, v106
	v_dot2c_f32_f16 v83, v123, v107
	v_dot2c_f32_f16 v50, v123, v108
	v_dot2c_f32_f16 v49, v123, v109
	v_dot2c_f32_f16 v80, v124, v106
	v_dot2c_f32_f16 v79, v124, v107
	v_dot2c_f32_f16 v48, v124, v108
	v_dot2c_f32_f16 v47, v124, v109
	v_dot2c_f32_f16 v76, v125, v106
	v_dot2c_f32_f16 v75, v125, v107
	v_dot2c_f32_f16 v42, v125, v108
	v_dot2c_f32_f16 v41, v125, v109
	v_dot2c_f32_f16 v86, v122, v118
	v_dot2c_f32_f16 v85, v122, v119
	v_dot2c_f32_f16 v54, v122, v120
	v_dot2c_f32_f16 v53, v122, v121
	v_dot2c_f32_f16 v82, v123, v118
	v_dot2c_f32_f16 v81, v123, v119
	v_dot2c_f32_f16 v51, v123, v120
	v_dot2c_f32_f16 v52, v123, v121
	v_dot2c_f32_f16 v78, v124, v118
	v_dot2c_f32_f16 v77, v124, v119
	v_dot2c_f32_f16 v45, v124, v120
	v_dot2c_f32_f16 v46, v124, v121
	v_dot2c_f32_f16 v74, v125, v118
	v_dot2c_f32_f16 v73, v125, v119
	v_dot2c_f32_f16 v43, v125, v120
	v_dot2c_f32_f16 v44, v125, v121
	s_waitcnt lgkmcnt(8)
	v_dot2c_f32_f16 v72, v126, v106
	v_dot2c_f32_f16 v71, v126, v107
	v_dot2c_f32_f16 v26, v126, v108
	v_dot2c_f32_f16 v25, v126, v109
	v_dot2c_f32_f16 v67, v127, v106
	v_dot2c_f32_f16 v66, v127, v107
	v_dot2c_f32_f16 v32, v127, v108
	v_dot2c_f32_f16 v31, v127, v109
	v_dot2c_f32_f16 v59, v128, v106
	v_dot2c_f32_f16 v58, v128, v107
	v_dot2c_f32_f16 v34, v128, v108
	v_dot2c_f32_f16 v33, v128, v109
	v_dot2c_f32_f16 v55, v129, v106
	v_dot2c_f32_f16 v68, v129, v107
	v_dot2c_f32_f16 v39, v129, v108
	v_dot2c_f32_f16 v40, v129, v109
	v_dot2c_f32_f16 v70, v126, v118
	v_dot2c_f32_f16 v69, v126, v119
	v_dot2c_f32_f16 v28, v126, v120
	v_dot2c_f32_f16 v27, v126, v121
	v_dot2c_f32_f16 v65, v127, v118
	v_dot2c_f32_f16 v63, v127, v119
	v_dot2c_f32_f16 v30, v127, v120
	v_dot2c_f32_f16 v29, v127, v121
	v_dot2c_f32_f16 v57, v128, v118
	v_dot2c_f32_f16 v56, v128, v119
	v_dot2c_f32_f16 v36, v128, v120
	v_dot2c_f32_f16 v35, v128, v121
	v_dot2c_f32_f16 v64, v129, v118
	v_dot2c_f32_f16 v62, v129, v119
	v_dot2c_f32_f16 v37, v129, v120
	v_dot2c_f32_f16 v38, v129, v121
	;; [unrolled: 33-line block ×4, first 2 shown]
	s_waitcnt lgkmcnt(1)
	v_dot2c_f32_f16 v88, v17, v21
	v_dot2c_f32_f16 v87, v17, v22
	;; [unrolled: 1-line block ×16, first 2 shown]
	s_waitcnt lgkmcnt(0)
	v_dot2c_f32_f16 v86, v17, v94
	v_dot2c_f32_f16 v85, v17, v95
	;; [unrolled: 1-line block ×16, first 2 shown]
	ds_read_b128 v[17:20], v89 offset:3072
	v_dot2c_f32_f16 v72, v98, v21
	v_dot2c_f32_f16 v71, v98, v22
	;; [unrolled: 1-line block ×15, first 2 shown]
	ds_read_b128 v[102:105], v90 offset:19456
	v_dot2c_f32_f16 v40, v101, v24
	v_dot2c_f32_f16 v70, v98, v94
	;; [unrolled: 1-line block ×15, first 2 shown]
	ds_read_b128 v[21:24], v90 offset:19712
	v_dot2c_f32_f16 v37, v101, v96
	v_dot2c_f32_f16 v38, v101, v97
	ds_read_b128 v[94:97], v89 offset:3328
	s_waitcnt lgkmcnt(2)
	v_dot2c_f32_f16 v88, v17, v102
	v_dot2c_f32_f16 v87, v17, v103
	;; [unrolled: 1-line block ×16, first 2 shown]
	s_waitcnt lgkmcnt(1)
	v_dot2c_f32_f16 v86, v17, v21
	v_dot2c_f32_f16 v85, v17, v22
	;; [unrolled: 1-line block ×16, first 2 shown]
	ds_read_b128 v[17:20], v89 offset:3584
	s_waitcnt lgkmcnt(1)
	v_dot2c_f32_f16 v72, v94, v102
	v_dot2c_f32_f16 v71, v94, v103
	;; [unrolled: 1-line block ×15, first 2 shown]
	ds_read_b128 v[98:101], v90 offset:19968
	v_dot2c_f32_f16 v40, v97, v105
	v_dot2c_f32_f16 v70, v94, v21
	;; [unrolled: 1-line block ×15, first 2 shown]
	ds_read_b128 v[102:105], v90 offset:20224
	v_dot2c_f32_f16 v37, v97, v23
	v_dot2c_f32_f16 v38, v97, v24
	ds_read_b128 v[21:24], v89 offset:3840
	s_waitcnt lgkmcnt(2)
	v_dot2c_f32_f16 v88, v17, v98
	v_dot2c_f32_f16 v87, v17, v99
	;; [unrolled: 1-line block ×16, first 2 shown]
	s_waitcnt lgkmcnt(1)
	v_dot2c_f32_f16 v86, v17, v102
	v_dot2c_f32_f16 v85, v17, v103
	;; [unrolled: 1-line block ×16, first 2 shown]
	ds_read_b128 v[17:20], v89 offset:4096
	s_waitcnt lgkmcnt(1)
	v_dot2c_f32_f16 v72, v21, v98
	v_dot2c_f32_f16 v71, v21, v99
	;; [unrolled: 1-line block ×15, first 2 shown]
	ds_read_b128 v[94:97], v90 offset:20480
	v_dot2c_f32_f16 v40, v24, v101
	v_dot2c_f32_f16 v70, v21, v102
	;; [unrolled: 1-line block ×15, first 2 shown]
	ds_read_b128 v[98:101], v90 offset:20736
	v_dot2c_f32_f16 v37, v24, v104
	v_dot2c_f32_f16 v38, v24, v105
	ds_read_b128 v[21:24], v89 offset:4352
	s_waitcnt lgkmcnt(2)
	v_dot2c_f32_f16 v88, v17, v94
	v_dot2c_f32_f16 v87, v17, v95
	;; [unrolled: 1-line block ×16, first 2 shown]
	s_waitcnt lgkmcnt(1)
	v_dot2c_f32_f16 v86, v17, v98
	v_dot2c_f32_f16 v85, v17, v99
	;; [unrolled: 1-line block ×16, first 2 shown]
	ds_read_b128 v[17:20], v89 offset:4608
	s_waitcnt lgkmcnt(1)
	v_dot2c_f32_f16 v72, v21, v94
	v_dot2c_f32_f16 v71, v21, v95
	;; [unrolled: 1-line block ×15, first 2 shown]
	ds_read_b128 v[102:105], v90 offset:20992
	v_dot2c_f32_f16 v40, v24, v97
	v_dot2c_f32_f16 v70, v21, v98
	v_dot2c_f32_f16 v69, v21, v99
	v_dot2c_f32_f16 v28, v21, v100
	v_dot2c_f32_f16 v27, v21, v101
	v_dot2c_f32_f16 v65, v22, v98
	v_dot2c_f32_f16 v63, v22, v99
	v_dot2c_f32_f16 v30, v22, v100
	v_dot2c_f32_f16 v29, v22, v101
	v_dot2c_f32_f16 v57, v23, v98
	v_dot2c_f32_f16 v56, v23, v99
	v_dot2c_f32_f16 v36, v23, v100
	v_dot2c_f32_f16 v35, v23, v101
	v_dot2c_f32_f16 v64, v24, v98
	v_dot2c_f32_f16 v62, v24, v99
	ds_read_b128 v[94:97], v90 offset:21248
	v_dot2c_f32_f16 v37, v24, v100
	v_dot2c_f32_f16 v38, v24, v101
	ds_read_b128 v[21:24], v89 offset:4864
	s_waitcnt lgkmcnt(2)
	v_dot2c_f32_f16 v88, v17, v102
	v_dot2c_f32_f16 v87, v17, v103
	v_dot2c_f32_f16 v61, v17, v104
	v_dot2c_f32_f16 v60, v17, v105
	v_dot2c_f32_f16 v84, v18, v102
	v_dot2c_f32_f16 v83, v18, v103
	v_dot2c_f32_f16 v50, v18, v104
	v_dot2c_f32_f16 v49, v18, v105
	v_dot2c_f32_f16 v80, v19, v102
	v_dot2c_f32_f16 v79, v19, v103
	v_dot2c_f32_f16 v48, v19, v104
	v_dot2c_f32_f16 v47, v19, v105
	v_dot2c_f32_f16 v76, v20, v102
	v_dot2c_f32_f16 v75, v20, v103
	v_dot2c_f32_f16 v42, v20, v104
	v_dot2c_f32_f16 v41, v20, v105
	s_waitcnt lgkmcnt(1)
	v_dot2c_f32_f16 v86, v17, v94
	v_dot2c_f32_f16 v85, v17, v95
	;; [unrolled: 1-line block ×16, first 2 shown]
	ds_read_b128 v[17:20], v89 offset:5120
	s_waitcnt lgkmcnt(1)
	v_dot2c_f32_f16 v72, v21, v102
	v_dot2c_f32_f16 v71, v21, v103
	;; [unrolled: 1-line block ×15, first 2 shown]
	ds_read_b128 v[98:101], v90 offset:21504
	v_dot2c_f32_f16 v40, v24, v105
	v_dot2c_f32_f16 v70, v21, v94
	;; [unrolled: 1-line block ×15, first 2 shown]
	ds_read_b128 v[102:105], v90 offset:21760
	v_dot2c_f32_f16 v37, v24, v96
	v_dot2c_f32_f16 v38, v24, v97
	ds_read_b128 v[21:24], v89 offset:5376
	s_waitcnt lgkmcnt(2)
	v_dot2c_f32_f16 v88, v17, v98
	v_dot2c_f32_f16 v87, v17, v99
	;; [unrolled: 1-line block ×16, first 2 shown]
	s_waitcnt lgkmcnt(1)
	v_dot2c_f32_f16 v86, v17, v102
	v_dot2c_f32_f16 v85, v17, v103
	;; [unrolled: 1-line block ×16, first 2 shown]
	ds_read_b128 v[17:20], v89 offset:5632
	s_waitcnt lgkmcnt(1)
	v_dot2c_f32_f16 v72, v21, v98
	v_dot2c_f32_f16 v71, v21, v99
	v_dot2c_f32_f16 v26, v21, v100
	v_dot2c_f32_f16 v25, v21, v101
	v_dot2c_f32_f16 v67, v22, v98
	v_dot2c_f32_f16 v66, v22, v99
	v_dot2c_f32_f16 v32, v22, v100
	v_dot2c_f32_f16 v31, v22, v101
	v_dot2c_f32_f16 v59, v23, v98
	v_dot2c_f32_f16 v58, v23, v99
	v_dot2c_f32_f16 v34, v23, v100
	v_dot2c_f32_f16 v33, v23, v101
	v_dot2c_f32_f16 v55, v24, v98
	v_dot2c_f32_f16 v68, v24, v99
	v_dot2c_f32_f16 v39, v24, v100
	ds_read_b128 v[94:97], v90 offset:22016
	v_dot2c_f32_f16 v40, v24, v101
	v_dot2c_f32_f16 v70, v21, v102
	;; [unrolled: 1-line block ×15, first 2 shown]
	ds_read_b128 v[98:101], v90 offset:22272
	v_dot2c_f32_f16 v37, v24, v104
	v_dot2c_f32_f16 v38, v24, v105
	ds_read_b128 v[21:24], v89 offset:5888
	s_waitcnt lgkmcnt(2)
	v_dot2c_f32_f16 v88, v17, v94
	v_dot2c_f32_f16 v87, v17, v95
	v_dot2c_f32_f16 v61, v17, v96
	v_dot2c_f32_f16 v60, v17, v97
	v_dot2c_f32_f16 v84, v18, v94
	v_dot2c_f32_f16 v83, v18, v95
	v_dot2c_f32_f16 v50, v18, v96
	v_dot2c_f32_f16 v49, v18, v97
	v_dot2c_f32_f16 v80, v19, v94
	v_dot2c_f32_f16 v79, v19, v95
	v_dot2c_f32_f16 v48, v19, v96
	v_dot2c_f32_f16 v47, v19, v97
	v_dot2c_f32_f16 v76, v20, v94
	v_dot2c_f32_f16 v75, v20, v95
	v_dot2c_f32_f16 v42, v20, v96
	v_dot2c_f32_f16 v41, v20, v97
	s_waitcnt lgkmcnt(1)
	v_dot2c_f32_f16 v86, v17, v98
	v_dot2c_f32_f16 v85, v17, v99
	;; [unrolled: 1-line block ×16, first 2 shown]
	ds_read_b128 v[17:20], v89 offset:6144
	s_waitcnt lgkmcnt(1)
	v_dot2c_f32_f16 v72, v21, v94
	v_dot2c_f32_f16 v71, v21, v95
	;; [unrolled: 1-line block ×15, first 2 shown]
	ds_read_b128 v[102:105], v90 offset:22528
	v_dot2c_f32_f16 v40, v24, v97
	v_dot2c_f32_f16 v70, v21, v98
	;; [unrolled: 1-line block ×15, first 2 shown]
	ds_read_b128 v[94:97], v90 offset:22784
	v_dot2c_f32_f16 v37, v24, v100
	v_dot2c_f32_f16 v38, v24, v101
	ds_read_b128 v[21:24], v89 offset:6400
	s_waitcnt lgkmcnt(2)
	v_dot2c_f32_f16 v88, v17, v102
	v_dot2c_f32_f16 v87, v17, v103
	;; [unrolled: 1-line block ×16, first 2 shown]
	s_waitcnt lgkmcnt(1)
	v_dot2c_f32_f16 v86, v17, v94
	v_dot2c_f32_f16 v85, v17, v95
	;; [unrolled: 1-line block ×16, first 2 shown]
	ds_read_b128 v[17:20], v89 offset:6656
	s_waitcnt lgkmcnt(1)
	v_dot2c_f32_f16 v72, v21, v102
	v_dot2c_f32_f16 v71, v21, v103
	v_dot2c_f32_f16 v26, v21, v104
	v_dot2c_f32_f16 v25, v21, v105
	v_dot2c_f32_f16 v67, v22, v102
	v_dot2c_f32_f16 v66, v22, v103
	v_dot2c_f32_f16 v32, v22, v104
	v_dot2c_f32_f16 v31, v22, v105
	v_dot2c_f32_f16 v59, v23, v102
	v_dot2c_f32_f16 v58, v23, v103
	v_dot2c_f32_f16 v34, v23, v104
	v_dot2c_f32_f16 v33, v23, v105
	v_dot2c_f32_f16 v55, v24, v102
	v_dot2c_f32_f16 v68, v24, v103
	v_dot2c_f32_f16 v39, v24, v104
	ds_read_b128 v[98:101], v90 offset:23040
	v_dot2c_f32_f16 v40, v24, v105
	v_dot2c_f32_f16 v70, v21, v94
	;; [unrolled: 1-line block ×15, first 2 shown]
	ds_read_b128 v[102:105], v90 offset:23296
	v_dot2c_f32_f16 v37, v24, v96
	v_dot2c_f32_f16 v38, v24, v97
	ds_read_b128 v[21:24], v89 offset:6912
	s_waitcnt lgkmcnt(2)
	v_dot2c_f32_f16 v88, v17, v98
	v_dot2c_f32_f16 v87, v17, v99
	;; [unrolled: 1-line block ×16, first 2 shown]
	s_waitcnt lgkmcnt(1)
	v_dot2c_f32_f16 v86, v17, v102
	v_dot2c_f32_f16 v85, v17, v103
	;; [unrolled: 1-line block ×16, first 2 shown]
	ds_read_b128 v[17:20], v89 offset:7168
	s_waitcnt lgkmcnt(1)
	v_dot2c_f32_f16 v72, v21, v98
	v_dot2c_f32_f16 v71, v21, v99
	;; [unrolled: 1-line block ×15, first 2 shown]
	ds_read_b128 v[94:97], v90 offset:23552
	v_dot2c_f32_f16 v40, v24, v101
	v_dot2c_f32_f16 v70, v21, v102
	v_dot2c_f32_f16 v69, v21, v103
	v_dot2c_f32_f16 v28, v21, v104
	v_dot2c_f32_f16 v27, v21, v105
	v_dot2c_f32_f16 v65, v22, v102
	v_dot2c_f32_f16 v63, v22, v103
	v_dot2c_f32_f16 v30, v22, v104
	v_dot2c_f32_f16 v29, v22, v105
	v_dot2c_f32_f16 v57, v23, v102
	v_dot2c_f32_f16 v56, v23, v103
	v_dot2c_f32_f16 v36, v23, v104
	v_dot2c_f32_f16 v35, v23, v105
	v_dot2c_f32_f16 v64, v24, v102
	v_dot2c_f32_f16 v62, v24, v103
	ds_read_b128 v[98:101], v90 offset:23808
	v_dot2c_f32_f16 v37, v24, v104
	v_dot2c_f32_f16 v38, v24, v105
	ds_read_b128 v[21:24], v89 offset:7424
	v_cmp_le_i32_e64 s10, s11, v16
	v_cmp_gt_i32_e64 s11, s17, v16
	v_cmp_gt_i32_e64 s1, s55, v114
	s_and_b32 s4, s4, s6
	s_and_b32 s3, s3, s5
	;; [unrolled: 1-line block ×11, first 2 shown]
	s_waitcnt vmcnt(2)
	v_cndmask_b32_e64 v3, 0, v3, s0
	v_cndmask_b32_e64 v2, 0, v2, s0
	;; [unrolled: 1-line block ×4, first 2 shown]
	s_and_b32 s0, vcc_lo, s3
	s_and_b32 vcc_lo, vcc_lo, s4
	s_waitcnt vmcnt(1)
	v_cndmask_b32_e64 v9, 0, v9, s0
	v_cndmask_b32_e64 v16, 0, v8, s0
	s_waitcnt lgkmcnt(2)
	v_dot2c_f32_f16 v88, v17, v94
	v_dot2c_f32_f16 v87, v17, v95
	;; [unrolled: 1-line block ×16, first 2 shown]
	s_waitcnt lgkmcnt(1)
	v_dot2c_f32_f16 v86, v17, v98
	v_dot2c_f32_f16 v85, v17, v99
	v_dot2c_f32_f16 v54, v17, v100
	v_dot2c_f32_f16 v53, v17, v101
	v_dot2c_f32_f16 v82, v18, v98
	v_dot2c_f32_f16 v81, v18, v99
	v_dot2c_f32_f16 v51, v18, v100
	v_dot2c_f32_f16 v52, v18, v101
	v_dot2c_f32_f16 v78, v19, v98
	v_dot2c_f32_f16 v77, v19, v99
	v_dot2c_f32_f16 v45, v19, v100
	v_dot2c_f32_f16 v46, v19, v101
	v_dot2c_f32_f16 v74, v20, v98
	v_dot2c_f32_f16 v73, v20, v99
	v_dot2c_f32_f16 v43, v20, v100
	v_dot2c_f32_f16 v44, v20, v101
	ds_read_b128 v[17:20], v89 offset:7680
	s_waitcnt lgkmcnt(1)
	v_dot2c_f32_f16 v72, v21, v94
	v_dot2c_f32_f16 v71, v21, v95
	;; [unrolled: 1-line block ×15, first 2 shown]
	ds_read_b128 v[102:105], v90 offset:24064
	v_dot2c_f32_f16 v40, v24, v97
	v_dot2c_f32_f16 v70, v21, v98
	;; [unrolled: 1-line block ×15, first 2 shown]
	ds_read_b128 v[94:97], v90 offset:24320
	v_dot2c_f32_f16 v37, v24, v100
	v_dot2c_f32_f16 v38, v24, v101
	ds_read_b128 v[21:24], v89 offset:7936
	v_cndmask_b32_e64 v11, 0, v11, s0
	v_cndmask_b32_e64 v10, 0, v10, s0
	s_waitcnt vmcnt(0)
	v_cndmask_b32_e32 v13, 0, v13, vcc_lo
	v_cndmask_b32_e32 v12, 0, v12, vcc_lo
	;; [unrolled: 1-line block ×4, first 2 shown]
	v_cndmask_b32_e64 v7, 0, v7, s2
	v_cndmask_b32_e64 v6, 0, v6, s2
	;; [unrolled: 1-line block ×4, first 2 shown]
	ds_write2st64_b32 v93, v16, v9 offset0:32 offset1:34
	ds_write2st64_b32 v93, v10, v11 offset0:36 offset1:38
	;; [unrolled: 1-line block ×8, first 2 shown]
	s_waitcnt lgkmcnt(0)
	s_barrier
	ds_read_b128 v[0:3], v89 offset:8192
	ds_read_b128 v[4:7], v90 offset:24576
	;; [unrolled: 1-line block ×4, first 2 shown]
	v_dot2c_f32_f16 v88, v17, v102
	v_dot2c_f32_f16 v87, v17, v103
	;; [unrolled: 1-line block ×64, first 2 shown]
	s_waitcnt lgkmcnt(2)
	v_dot2c_f32_f16 v88, v0, v4
	v_dot2c_f32_f16 v87, v0, v5
	;; [unrolled: 1-line block ×16, first 2 shown]
	ds_read_b128 v[16:19], v90 offset:25088
	s_waitcnt lgkmcnt(2)
	v_dot2c_f32_f16 v86, v0, v8
	v_dot2c_f32_f16 v85, v0, v9
	v_dot2c_f32_f16 v54, v0, v10
	v_dot2c_f32_f16 v53, v0, v11
	v_dot2c_f32_f16 v82, v1, v8
	v_dot2c_f32_f16 v81, v1, v9
	v_dot2c_f32_f16 v51, v1, v10
	v_dot2c_f32_f16 v52, v1, v11
	v_dot2c_f32_f16 v78, v2, v8
	v_dot2c_f32_f16 v77, v2, v9
	v_dot2c_f32_f16 v45, v2, v10
	v_dot2c_f32_f16 v46, v2, v11
	v_dot2c_f32_f16 v74, v3, v8
	v_dot2c_f32_f16 v73, v3, v9
	v_dot2c_f32_f16 v43, v3, v10
	v_dot2c_f32_f16 v44, v3, v11
	ds_read_b128 v[0:3], v89 offset:8704
	s_waitcnt lgkmcnt(2)
	v_dot2c_f32_f16 v72, v12, v4
	v_dot2c_f32_f16 v71, v12, v5
	;; [unrolled: 1-line block ×30, first 2 shown]
	ds_read_b128 v[4:7], v90 offset:25344
	v_dot2c_f32_f16 v37, v15, v10
	v_dot2c_f32_f16 v38, v15, v11
	ds_read_b128 v[8:11], v89 offset:8960
	s_waitcnt lgkmcnt(2)
	v_dot2c_f32_f16 v88, v0, v16
	v_dot2c_f32_f16 v87, v0, v17
	v_dot2c_f32_f16 v61, v0, v18
	v_dot2c_f32_f16 v60, v0, v19
	v_dot2c_f32_f16 v84, v1, v16
	v_dot2c_f32_f16 v83, v1, v17
	v_dot2c_f32_f16 v50, v1, v18
	v_dot2c_f32_f16 v49, v1, v19
	v_dot2c_f32_f16 v80, v2, v16
	v_dot2c_f32_f16 v79, v2, v17
	v_dot2c_f32_f16 v48, v2, v18
	v_dot2c_f32_f16 v47, v2, v19
	v_dot2c_f32_f16 v76, v3, v16
	v_dot2c_f32_f16 v75, v3, v17
	v_dot2c_f32_f16 v42, v3, v18
	v_dot2c_f32_f16 v41, v3, v19
	ds_read_b128 v[12:15], v90 offset:25600
	s_waitcnt lgkmcnt(2)
	v_dot2c_f32_f16 v86, v0, v4
	v_dot2c_f32_f16 v85, v0, v5
	v_dot2c_f32_f16 v54, v0, v6
	v_dot2c_f32_f16 v53, v0, v7
	v_dot2c_f32_f16 v82, v1, v4
	v_dot2c_f32_f16 v81, v1, v5
	v_dot2c_f32_f16 v51, v1, v6
	v_dot2c_f32_f16 v52, v1, v7
	v_dot2c_f32_f16 v78, v2, v4
	v_dot2c_f32_f16 v77, v2, v5
	v_dot2c_f32_f16 v45, v2, v6
	v_dot2c_f32_f16 v46, v2, v7
	v_dot2c_f32_f16 v74, v3, v4
	v_dot2c_f32_f16 v73, v3, v5
	;; [unrolled: 18-line block ×3, first 2 shown]
	v_dot2c_f32_f16 v39, v11, v18
	v_dot2c_f32_f16 v40, v11, v19
	;; [unrolled: 1-line block ×16, first 2 shown]
	ds_read_b128 v[16:19], v90 offset:25856
	v_dot2c_f32_f16 v37, v11, v6
	v_dot2c_f32_f16 v38, v11, v7
	ds_read_b128 v[4:7], v89 offset:9472
	s_waitcnt lgkmcnt(2)
	v_dot2c_f32_f16 v88, v0, v12
	v_dot2c_f32_f16 v87, v0, v13
	v_dot2c_f32_f16 v61, v0, v14
	v_dot2c_f32_f16 v60, v0, v15
	v_dot2c_f32_f16 v84, v1, v12
	v_dot2c_f32_f16 v83, v1, v13
	v_dot2c_f32_f16 v50, v1, v14
	v_dot2c_f32_f16 v49, v1, v15
	v_dot2c_f32_f16 v80, v2, v12
	v_dot2c_f32_f16 v79, v2, v13
	v_dot2c_f32_f16 v48, v2, v14
	v_dot2c_f32_f16 v47, v2, v15
	v_dot2c_f32_f16 v76, v3, v12
	v_dot2c_f32_f16 v75, v3, v13
	v_dot2c_f32_f16 v42, v3, v14
	v_dot2c_f32_f16 v41, v3, v15
	ds_read_b128 v[8:11], v90 offset:26112
	s_waitcnt lgkmcnt(2)
	v_dot2c_f32_f16 v86, v0, v16
	v_dot2c_f32_f16 v85, v0, v17
	v_dot2c_f32_f16 v54, v0, v18
	v_dot2c_f32_f16 v53, v0, v19
	v_dot2c_f32_f16 v82, v1, v16
	v_dot2c_f32_f16 v81, v1, v17
	v_dot2c_f32_f16 v51, v1, v18
	v_dot2c_f32_f16 v52, v1, v19
	v_dot2c_f32_f16 v78, v2, v16
	v_dot2c_f32_f16 v77, v2, v17
	v_dot2c_f32_f16 v45, v2, v18
	v_dot2c_f32_f16 v46, v2, v19
	v_dot2c_f32_f16 v74, v3, v16
	v_dot2c_f32_f16 v73, v3, v17
	v_dot2c_f32_f16 v43, v3, v18
	v_dot2c_f32_f16 v44, v3, v19
	ds_read_b128 v[0:3], v89 offset:9728
	s_waitcnt lgkmcnt(2)
	v_dot2c_f32_f16 v72, v4, v12
	v_dot2c_f32_f16 v71, v4, v13
	v_dot2c_f32_f16 v26, v4, v14
	v_dot2c_f32_f16 v25, v4, v15
	v_dot2c_f32_f16 v67, v5, v12
	v_dot2c_f32_f16 v66, v5, v13
	v_dot2c_f32_f16 v32, v5, v14
	v_dot2c_f32_f16 v31, v5, v15
	v_dot2c_f32_f16 v59, v6, v12
	v_dot2c_f32_f16 v58, v6, v13
	v_dot2c_f32_f16 v34, v6, v14
	v_dot2c_f32_f16 v33, v6, v15
	v_dot2c_f32_f16 v55, v7, v12
	v_dot2c_f32_f16 v68, v7, v13
	v_dot2c_f32_f16 v39, v7, v14
	v_dot2c_f32_f16 v40, v7, v15
	;; [unrolled: 1-line block ×16, first 2 shown]
	ds_read_b128 v[12:15], v90 offset:26368
	v_dot2c_f32_f16 v37, v7, v18
	v_dot2c_f32_f16 v38, v7, v19
	ds_read_b128 v[4:7], v89 offset:9984
	s_waitcnt lgkmcnt(2)
	v_dot2c_f32_f16 v88, v0, v8
	v_dot2c_f32_f16 v87, v0, v9
	v_dot2c_f32_f16 v61, v0, v10
	v_dot2c_f32_f16 v60, v0, v11
	v_dot2c_f32_f16 v84, v1, v8
	v_dot2c_f32_f16 v83, v1, v9
	v_dot2c_f32_f16 v50, v1, v10
	v_dot2c_f32_f16 v49, v1, v11
	v_dot2c_f32_f16 v80, v2, v8
	v_dot2c_f32_f16 v79, v2, v9
	v_dot2c_f32_f16 v48, v2, v10
	v_dot2c_f32_f16 v47, v2, v11
	v_dot2c_f32_f16 v76, v3, v8
	v_dot2c_f32_f16 v75, v3, v9
	v_dot2c_f32_f16 v42, v3, v10
	v_dot2c_f32_f16 v41, v3, v11
	ds_read_b128 v[16:19], v90 offset:26624
	s_waitcnt lgkmcnt(2)
	v_dot2c_f32_f16 v86, v0, v12
	v_dot2c_f32_f16 v85, v0, v13
	v_dot2c_f32_f16 v54, v0, v14
	v_dot2c_f32_f16 v53, v0, v15
	v_dot2c_f32_f16 v82, v1, v12
	v_dot2c_f32_f16 v81, v1, v13
	v_dot2c_f32_f16 v51, v1, v14
	v_dot2c_f32_f16 v52, v1, v15
	v_dot2c_f32_f16 v78, v2, v12
	v_dot2c_f32_f16 v77, v2, v13
	v_dot2c_f32_f16 v45, v2, v14
	v_dot2c_f32_f16 v46, v2, v15
	v_dot2c_f32_f16 v74, v3, v12
	v_dot2c_f32_f16 v73, v3, v13
	;; [unrolled: 18-line block ×3, first 2 shown]
	v_dot2c_f32_f16 v39, v7, v10
	v_dot2c_f32_f16 v40, v7, v11
	;; [unrolled: 1-line block ×16, first 2 shown]
	ds_read_b128 v[8:11], v90 offset:26880
	v_dot2c_f32_f16 v37, v7, v14
	v_dot2c_f32_f16 v38, v7, v15
	ds_read_b128 v[4:7], v89 offset:10496
	s_waitcnt lgkmcnt(2)
	v_dot2c_f32_f16 v88, v0, v16
	v_dot2c_f32_f16 v87, v0, v17
	v_dot2c_f32_f16 v61, v0, v18
	v_dot2c_f32_f16 v60, v0, v19
	v_dot2c_f32_f16 v84, v1, v16
	v_dot2c_f32_f16 v83, v1, v17
	v_dot2c_f32_f16 v50, v1, v18
	v_dot2c_f32_f16 v49, v1, v19
	v_dot2c_f32_f16 v80, v2, v16
	v_dot2c_f32_f16 v79, v2, v17
	v_dot2c_f32_f16 v48, v2, v18
	v_dot2c_f32_f16 v47, v2, v19
	v_dot2c_f32_f16 v76, v3, v16
	v_dot2c_f32_f16 v75, v3, v17
	v_dot2c_f32_f16 v42, v3, v18
	v_dot2c_f32_f16 v41, v3, v19
	ds_read_b128 v[12:15], v90 offset:27136
	s_waitcnt lgkmcnt(2)
	v_dot2c_f32_f16 v86, v0, v8
	v_dot2c_f32_f16 v85, v0, v9
	v_dot2c_f32_f16 v54, v0, v10
	v_dot2c_f32_f16 v53, v0, v11
	v_dot2c_f32_f16 v82, v1, v8
	v_dot2c_f32_f16 v81, v1, v9
	v_dot2c_f32_f16 v51, v1, v10
	v_dot2c_f32_f16 v52, v1, v11
	v_dot2c_f32_f16 v78, v2, v8
	v_dot2c_f32_f16 v77, v2, v9
	v_dot2c_f32_f16 v45, v2, v10
	v_dot2c_f32_f16 v46, v2, v11
	v_dot2c_f32_f16 v74, v3, v8
	v_dot2c_f32_f16 v73, v3, v9
	;; [unrolled: 18-line block ×3, first 2 shown]
	v_dot2c_f32_f16 v39, v7, v18
	v_dot2c_f32_f16 v40, v7, v19
	;; [unrolled: 1-line block ×16, first 2 shown]
	ds_read_b128 v[16:19], v90 offset:27392
	v_dot2c_f32_f16 v37, v7, v10
	v_dot2c_f32_f16 v38, v7, v11
	ds_read_b128 v[4:7], v89 offset:11008
	s_waitcnt lgkmcnt(2)
	v_dot2c_f32_f16 v88, v0, v12
	v_dot2c_f32_f16 v87, v0, v13
	v_dot2c_f32_f16 v61, v0, v14
	v_dot2c_f32_f16 v60, v0, v15
	v_dot2c_f32_f16 v84, v1, v12
	v_dot2c_f32_f16 v83, v1, v13
	v_dot2c_f32_f16 v50, v1, v14
	v_dot2c_f32_f16 v49, v1, v15
	v_dot2c_f32_f16 v80, v2, v12
	v_dot2c_f32_f16 v79, v2, v13
	v_dot2c_f32_f16 v48, v2, v14
	v_dot2c_f32_f16 v47, v2, v15
	v_dot2c_f32_f16 v76, v3, v12
	v_dot2c_f32_f16 v75, v3, v13
	v_dot2c_f32_f16 v42, v3, v14
	v_dot2c_f32_f16 v41, v3, v15
	ds_read_b128 v[8:11], v90 offset:27648
	s_waitcnt lgkmcnt(2)
	v_dot2c_f32_f16 v86, v0, v16
	v_dot2c_f32_f16 v85, v0, v17
	v_dot2c_f32_f16 v54, v0, v18
	v_dot2c_f32_f16 v53, v0, v19
	v_dot2c_f32_f16 v82, v1, v16
	v_dot2c_f32_f16 v81, v1, v17
	v_dot2c_f32_f16 v51, v1, v18
	v_dot2c_f32_f16 v52, v1, v19
	v_dot2c_f32_f16 v78, v2, v16
	v_dot2c_f32_f16 v77, v2, v17
	v_dot2c_f32_f16 v45, v2, v18
	v_dot2c_f32_f16 v46, v2, v19
	v_dot2c_f32_f16 v74, v3, v16
	v_dot2c_f32_f16 v73, v3, v17
	v_dot2c_f32_f16 v43, v3, v18
	v_dot2c_f32_f16 v44, v3, v19
	ds_read_b128 v[0:3], v89 offset:11264
	s_waitcnt lgkmcnt(2)
	v_dot2c_f32_f16 v72, v4, v12
	v_dot2c_f32_f16 v71, v4, v13
	v_dot2c_f32_f16 v26, v4, v14
	v_dot2c_f32_f16 v25, v4, v15
	v_dot2c_f32_f16 v67, v5, v12
	v_dot2c_f32_f16 v66, v5, v13
	v_dot2c_f32_f16 v32, v5, v14
	v_dot2c_f32_f16 v31, v5, v15
	v_dot2c_f32_f16 v59, v6, v12
	v_dot2c_f32_f16 v58, v6, v13
	v_dot2c_f32_f16 v34, v6, v14
	v_dot2c_f32_f16 v33, v6, v15
	v_dot2c_f32_f16 v55, v7, v12
	v_dot2c_f32_f16 v68, v7, v13
	v_dot2c_f32_f16 v39, v7, v14
	v_dot2c_f32_f16 v40, v7, v15
	;; [unrolled: 1-line block ×16, first 2 shown]
	ds_read_b128 v[12:15], v90 offset:27904
	v_dot2c_f32_f16 v37, v7, v18
	v_dot2c_f32_f16 v38, v7, v19
	ds_read_b128 v[4:7], v89 offset:11520
	s_waitcnt lgkmcnt(2)
	v_dot2c_f32_f16 v88, v0, v8
	v_dot2c_f32_f16 v87, v0, v9
	v_dot2c_f32_f16 v61, v0, v10
	v_dot2c_f32_f16 v60, v0, v11
	v_dot2c_f32_f16 v84, v1, v8
	v_dot2c_f32_f16 v83, v1, v9
	v_dot2c_f32_f16 v50, v1, v10
	v_dot2c_f32_f16 v49, v1, v11
	v_dot2c_f32_f16 v80, v2, v8
	v_dot2c_f32_f16 v79, v2, v9
	v_dot2c_f32_f16 v48, v2, v10
	v_dot2c_f32_f16 v47, v2, v11
	v_dot2c_f32_f16 v76, v3, v8
	v_dot2c_f32_f16 v75, v3, v9
	v_dot2c_f32_f16 v42, v3, v10
	v_dot2c_f32_f16 v41, v3, v11
	ds_read_b128 v[16:19], v90 offset:28160
	s_waitcnt lgkmcnt(2)
	v_dot2c_f32_f16 v86, v0, v12
	v_dot2c_f32_f16 v85, v0, v13
	v_dot2c_f32_f16 v54, v0, v14
	v_dot2c_f32_f16 v53, v0, v15
	v_dot2c_f32_f16 v82, v1, v12
	v_dot2c_f32_f16 v81, v1, v13
	v_dot2c_f32_f16 v51, v1, v14
	v_dot2c_f32_f16 v52, v1, v15
	v_dot2c_f32_f16 v78, v2, v12
	v_dot2c_f32_f16 v77, v2, v13
	v_dot2c_f32_f16 v45, v2, v14
	v_dot2c_f32_f16 v46, v2, v15
	v_dot2c_f32_f16 v74, v3, v12
	v_dot2c_f32_f16 v73, v3, v13
	;; [unrolled: 18-line block ×3, first 2 shown]
	v_dot2c_f32_f16 v39, v7, v10
	v_dot2c_f32_f16 v40, v7, v11
	;; [unrolled: 1-line block ×16, first 2 shown]
	ds_read_b128 v[8:11], v90 offset:28416
	v_dot2c_f32_f16 v37, v7, v14
	v_dot2c_f32_f16 v38, v7, v15
	ds_read_b128 v[4:7], v89 offset:12032
	s_waitcnt lgkmcnt(2)
	v_dot2c_f32_f16 v88, v0, v16
	v_dot2c_f32_f16 v87, v0, v17
	v_dot2c_f32_f16 v61, v0, v18
	v_dot2c_f32_f16 v60, v0, v19
	v_dot2c_f32_f16 v84, v1, v16
	v_dot2c_f32_f16 v83, v1, v17
	v_dot2c_f32_f16 v50, v1, v18
	v_dot2c_f32_f16 v49, v1, v19
	v_dot2c_f32_f16 v80, v2, v16
	v_dot2c_f32_f16 v79, v2, v17
	v_dot2c_f32_f16 v48, v2, v18
	v_dot2c_f32_f16 v47, v2, v19
	v_dot2c_f32_f16 v76, v3, v16
	v_dot2c_f32_f16 v75, v3, v17
	v_dot2c_f32_f16 v42, v3, v18
	v_dot2c_f32_f16 v41, v3, v19
	ds_read_b128 v[12:15], v90 offset:28672
	s_waitcnt lgkmcnt(2)
	v_dot2c_f32_f16 v86, v0, v8
	v_dot2c_f32_f16 v85, v0, v9
	v_dot2c_f32_f16 v54, v0, v10
	v_dot2c_f32_f16 v53, v0, v11
	v_dot2c_f32_f16 v82, v1, v8
	v_dot2c_f32_f16 v81, v1, v9
	v_dot2c_f32_f16 v51, v1, v10
	v_dot2c_f32_f16 v52, v1, v11
	v_dot2c_f32_f16 v78, v2, v8
	v_dot2c_f32_f16 v77, v2, v9
	v_dot2c_f32_f16 v45, v2, v10
	v_dot2c_f32_f16 v46, v2, v11
	v_dot2c_f32_f16 v74, v3, v8
	v_dot2c_f32_f16 v73, v3, v9
	;; [unrolled: 18-line block ×3, first 2 shown]
	v_dot2c_f32_f16 v39, v7, v18
	v_dot2c_f32_f16 v40, v7, v19
	;; [unrolled: 1-line block ×16, first 2 shown]
	ds_read_b128 v[16:19], v90 offset:28928
	v_dot2c_f32_f16 v37, v7, v10
	v_dot2c_f32_f16 v38, v7, v11
	ds_read_b128 v[4:7], v89 offset:12544
	s_waitcnt lgkmcnt(2)
	v_dot2c_f32_f16 v88, v0, v12
	v_dot2c_f32_f16 v87, v0, v13
	v_dot2c_f32_f16 v61, v0, v14
	v_dot2c_f32_f16 v60, v0, v15
	v_dot2c_f32_f16 v84, v1, v12
	v_dot2c_f32_f16 v83, v1, v13
	v_dot2c_f32_f16 v50, v1, v14
	v_dot2c_f32_f16 v49, v1, v15
	v_dot2c_f32_f16 v80, v2, v12
	v_dot2c_f32_f16 v79, v2, v13
	v_dot2c_f32_f16 v48, v2, v14
	v_dot2c_f32_f16 v47, v2, v15
	v_dot2c_f32_f16 v76, v3, v12
	v_dot2c_f32_f16 v75, v3, v13
	v_dot2c_f32_f16 v42, v3, v14
	v_dot2c_f32_f16 v41, v3, v15
	ds_read_b128 v[8:11], v90 offset:29184
	s_waitcnt lgkmcnt(2)
	v_dot2c_f32_f16 v86, v0, v16
	v_dot2c_f32_f16 v85, v0, v17
	v_dot2c_f32_f16 v54, v0, v18
	v_dot2c_f32_f16 v53, v0, v19
	v_dot2c_f32_f16 v82, v1, v16
	v_dot2c_f32_f16 v81, v1, v17
	v_dot2c_f32_f16 v51, v1, v18
	v_dot2c_f32_f16 v52, v1, v19
	v_dot2c_f32_f16 v78, v2, v16
	v_dot2c_f32_f16 v77, v2, v17
	v_dot2c_f32_f16 v45, v2, v18
	v_dot2c_f32_f16 v46, v2, v19
	v_dot2c_f32_f16 v74, v3, v16
	v_dot2c_f32_f16 v73, v3, v17
	;; [unrolled: 18-line block ×3, first 2 shown]
	v_dot2c_f32_f16 v39, v7, v14
	v_dot2c_f32_f16 v40, v7, v15
	v_dot2c_f32_f16 v70, v4, v16
	v_dot2c_f32_f16 v69, v4, v17
	v_dot2c_f32_f16 v28, v4, v18
	v_dot2c_f32_f16 v27, v4, v19
	v_dot2c_f32_f16 v65, v5, v16
	v_dot2c_f32_f16 v63, v5, v17
	v_dot2c_f32_f16 v30, v5, v18
	v_dot2c_f32_f16 v29, v5, v19
	v_dot2c_f32_f16 v57, v6, v16
	v_dot2c_f32_f16 v56, v6, v17
	v_dot2c_f32_f16 v36, v6, v18
	v_dot2c_f32_f16 v35, v6, v19
	v_dot2c_f32_f16 v64, v7, v16
	v_dot2c_f32_f16 v62, v7, v17
	ds_read_b128 v[12:15], v90 offset:29440
	v_dot2c_f32_f16 v37, v7, v18
	v_dot2c_f32_f16 v38, v7, v19
	ds_read_b128 v[4:7], v89 offset:13056
	s_waitcnt lgkmcnt(2)
	v_dot2c_f32_f16 v88, v0, v8
	v_dot2c_f32_f16 v87, v0, v9
	v_dot2c_f32_f16 v61, v0, v10
	v_dot2c_f32_f16 v60, v0, v11
	v_dot2c_f32_f16 v84, v1, v8
	v_dot2c_f32_f16 v83, v1, v9
	v_dot2c_f32_f16 v50, v1, v10
	v_dot2c_f32_f16 v49, v1, v11
	v_dot2c_f32_f16 v80, v2, v8
	v_dot2c_f32_f16 v79, v2, v9
	v_dot2c_f32_f16 v48, v2, v10
	v_dot2c_f32_f16 v47, v2, v11
	v_dot2c_f32_f16 v76, v3, v8
	v_dot2c_f32_f16 v75, v3, v9
	v_dot2c_f32_f16 v42, v3, v10
	v_dot2c_f32_f16 v41, v3, v11
	ds_read_b128 v[16:19], v90 offset:29696
	s_waitcnt lgkmcnt(2)
	v_dot2c_f32_f16 v86, v0, v12
	v_dot2c_f32_f16 v85, v0, v13
	v_dot2c_f32_f16 v54, v0, v14
	v_dot2c_f32_f16 v53, v0, v15
	v_dot2c_f32_f16 v82, v1, v12
	v_dot2c_f32_f16 v81, v1, v13
	v_dot2c_f32_f16 v51, v1, v14
	v_dot2c_f32_f16 v52, v1, v15
	v_dot2c_f32_f16 v78, v2, v12
	v_dot2c_f32_f16 v77, v2, v13
	v_dot2c_f32_f16 v45, v2, v14
	v_dot2c_f32_f16 v46, v2, v15
	v_dot2c_f32_f16 v74, v3, v12
	v_dot2c_f32_f16 v73, v3, v13
	;; [unrolled: 18-line block ×3, first 2 shown]
	v_dot2c_f32_f16 v39, v7, v10
	v_dot2c_f32_f16 v40, v7, v11
	ds_read_b128 v[8:11], v90 offset:29952
	ds_read_b128 v[20:23], v89 offset:13568
	v_dot2c_f32_f16 v70, v4, v12
	v_dot2c_f32_f16 v69, v4, v13
	;; [unrolled: 1-line block ×16, first 2 shown]
	s_waitcnt lgkmcnt(2)
	v_dot2c_f32_f16 v88, v0, v16
	v_dot2c_f32_f16 v87, v0, v17
	;; [unrolled: 1-line block ×16, first 2 shown]
	ds_read_b128 v[12:15], v90 offset:30208
	s_waitcnt lgkmcnt(2)
	v_dot2c_f32_f16 v86, v0, v8
	v_dot2c_f32_f16 v85, v0, v9
	v_dot2c_f32_f16 v54, v0, v10
	v_dot2c_f32_f16 v53, v0, v11
	v_dot2c_f32_f16 v82, v1, v8
	v_dot2c_f32_f16 v81, v1, v9
	v_dot2c_f32_f16 v51, v1, v10
	v_dot2c_f32_f16 v52, v1, v11
	v_dot2c_f32_f16 v78, v2, v8
	v_dot2c_f32_f16 v77, v2, v9
	v_dot2c_f32_f16 v45, v2, v10
	v_dot2c_f32_f16 v46, v2, v11
	v_dot2c_f32_f16 v74, v3, v8
	v_dot2c_f32_f16 v73, v3, v9
	v_dot2c_f32_f16 v43, v3, v10
	v_dot2c_f32_f16 v44, v3, v11
	ds_read_b128 v[0:3], v89 offset:13824
	s_waitcnt lgkmcnt(2)
	v_dot2c_f32_f16 v72, v20, v16
	v_dot2c_f32_f16 v67, v21, v16
	;; [unrolled: 1-line block ×4, first 2 shown]
	v_lshl_or_b32 v16, s19, 7, v92
	v_dot2c_f32_f16 v70, v20, v8
	v_dot2c_f32_f16 v69, v20, v9
	;; [unrolled: 1-line block ×14, first 2 shown]
	ds_read_b128 v[4:7], v90 offset:30464
	v_dot2c_f32_f16 v37, v23, v10
	v_dot2c_f32_f16 v38, v23, v11
	ds_read_b128 v[8:11], v89 offset:14080
	v_dot2c_f32_f16 v26, v20, v18
	v_dot2c_f32_f16 v32, v21, v18
	;; [unrolled: 1-line block ×4, first 2 shown]
	v_mul_lo_u32 v18, v16, s40
	v_dot2c_f32_f16 v71, v20, v17
	v_dot2c_f32_f16 v66, v21, v17
	;; [unrolled: 1-line block ×4, first 2 shown]
	v_lshl_add_u32 v17, s47, 7, v91
	v_dot2c_f32_f16 v25, v20, v19
	v_dot2c_f32_f16 v31, v21, v19
	;; [unrolled: 1-line block ×4, first 2 shown]
	v_mad_u64_u32 v[18:19], null, v17, s41, v[18:19]
	s_waitcnt lgkmcnt(2)
	v_dot2c_f32_f16 v88, v0, v12
	v_dot2c_f32_f16 v87, v0, v13
	;; [unrolled: 1-line block ×16, first 2 shown]
	s_waitcnt lgkmcnt(1)
	v_dot2c_f32_f16 v86, v0, v4
	v_dot2c_f32_f16 v85, v0, v5
	;; [unrolled: 1-line block ×16, first 2 shown]
	ds_read_b128 v[0:3], v89 offset:14336
	s_waitcnt lgkmcnt(1)
	v_dot2c_f32_f16 v72, v8, v12
	v_dot2c_f32_f16 v71, v8, v13
	;; [unrolled: 1-line block ×8, first 2 shown]
	v_lshlrev_b32_e32 v8, 1, v18
	s_lshl_b32 s18, s36, 1
	s_and_b32 s17, s14, 0xffff
	s_mov_b32 s19, 0x31014000
	s_lshl_b32 s0, s41, 6
	buffer_load_dwordx2 v[22:23], v8, s[16:19], 0 offen
	v_add_lshl_u32 v8, v18, s0, 1
	v_add_nc_u32_e32 v18, s40, v18
	v_dot2c_f32_f16 v67, v9, v12
	v_dot2c_f32_f16 v66, v9, v13
	;; [unrolled: 1-line block ×3, first 2 shown]
	buffer_load_dwordx2 v[91:92], v8, s[16:19], 0 offen
	v_lshlrev_b32_e32 v19, 1, v18
	v_dot2c_f32_f16 v31, v9, v15
	v_dot2c_f32_f16 v59, v10, v12
	;; [unrolled: 1-line block ×4, first 2 shown]
	buffer_load_dwordx2 v[93:94], v19, s[16:19], 0 offen
	v_dot2c_f32_f16 v33, v10, v15
	v_dot2c_f32_f16 v55, v11, v12
	;; [unrolled: 1-line block ×5, first 2 shown]
	ds_read_b128 v[12:15], v90 offset:30720
	v_dot2c_f32_f16 v65, v9, v4
	v_dot2c_f32_f16 v63, v9, v5
	;; [unrolled: 1-line block ×12, first 2 shown]
	ds_read_b128 v[4:7], v90 offset:30976
	v_add_lshl_u32 v20, v18, s0, 1
	v_add_nc_u32_e32 v18, s40, v18
	v_cmp_gt_i32_e32 vcc_lo, s39, v17
	s_lshl_b32 s14, s64, 1
	s_and_b32 s13, s13, 0xffff
	buffer_load_dwordx2 v[95:96], v20, s[16:19], 0 offen
	v_lshlrev_b32_e32 v19, 1, v18
	v_add_lshl_u32 v20, v18, s0, 1
	v_add_nc_u32_e32 v18, s40, v18
	s_waitcnt lgkmcnt(1)
	v_dot2c_f32_f16 v88, v0, v12
	v_dot2c_f32_f16 v87, v0, v13
	s_clause 0x1
	buffer_load_dwordx2 v[97:98], v19, s[16:19], 0 offen
	buffer_load_dwordx2 v[99:100], v20, s[16:19], 0 offen
	v_dot2c_f32_f16 v61, v0, v14
	v_dot2c_f32_f16 v60, v0, v15
	v_add_lshl_u32 v19, v18, s0, 1
	v_dot2c_f32_f16 v84, v1, v12
	v_dot2c_f32_f16 v83, v1, v13
	;; [unrolled: 1-line block ×3, first 2 shown]
	s_waitcnt lgkmcnt(0)
	v_dot2c_f32_f16 v86, v0, v4
	v_dot2c_f32_f16 v85, v0, v5
	;; [unrolled: 1-line block ×4, first 2 shown]
	v_lshlrev_b32_e32 v0, 1, v18
	buffer_load_dwordx2 v[103:104], v19, s[16:19], 0 offen
	v_mad_u64_u32 v[18:19], null, s40, 61, v[18:19]
	v_dot2c_f32_f16 v49, v1, v15
	buffer_load_dwordx2 v[101:102], v0, s[16:19], 0 offen
	ds_read_b128 v[8:11], v89 offset:14592
	v_dot2c_f32_f16 v80, v2, v12
	v_dot2c_f32_f16 v79, v2, v13
	;; [unrolled: 1-line block ×3, first 2 shown]
	v_lshlrev_b32_e32 v19, 1, v18
	v_add_lshl_u32 v20, v18, s0, 1
	v_add_nc_u32_e32 v18, s40, v18
	v_dot2c_f32_f16 v47, v2, v15
	v_dot2c_f32_f16 v76, v3, v12
	s_clause 0x1
	buffer_load_dwordx2 v[105:106], v19, s[16:19], 0 offen
	buffer_load_dwordx2 v[107:108], v20, s[16:19], 0 offen
	v_dot2c_f32_f16 v75, v3, v13
	v_dot2c_f32_f16 v42, v3, v14
	;; [unrolled: 1-line block ×15, first 2 shown]
	ds_read_b128 v[0:3], v89 offset:14848
	s_waitcnt lgkmcnt(1)
	v_dot2c_f32_f16 v72, v8, v12
	v_dot2c_f32_f16 v71, v8, v13
	v_dot2c_f32_f16 v26, v8, v14
	v_dot2c_f32_f16 v25, v8, v15
	v_dot2c_f32_f16 v67, v9, v12
	v_dot2c_f32_f16 v66, v9, v13
	v_dot2c_f32_f16 v32, v9, v14
	v_dot2c_f32_f16 v31, v9, v15
	v_dot2c_f32_f16 v70, v8, v4
	v_dot2c_f32_f16 v69, v8, v5
	v_dot2c_f32_f16 v28, v8, v6
	v_dot2c_f32_f16 v27, v8, v7
	v_dot2c_f32_f16 v65, v9, v4
	v_dot2c_f32_f16 v63, v9, v5
	v_dot2c_f32_f16 v30, v9, v6
	v_dot2c_f32_f16 v29, v9, v7
	v_lshlrev_b32_e32 v8, 1, v18
	v_add_lshl_u32 v9, v18, s0, 1
	v_dot2c_f32_f16 v59, v10, v12
	v_dot2c_f32_f16 v58, v10, v13
	;; [unrolled: 1-line block ×8, first 2 shown]
	ds_read_b128 v[12:15], v90 offset:31232
	v_dot2c_f32_f16 v57, v10, v4
	v_dot2c_f32_f16 v56, v10, v5
	;; [unrolled: 1-line block ×5, first 2 shown]
	s_clause 0x1
	buffer_load_dwordx2 v[109:110], v8, s[16:19], 0 offen
	buffer_load_dwordx2 v[111:112], v9, s[16:19], 0 offen
	v_dot2c_f32_f16 v62, v11, v5
	v_dot2c_f32_f16 v37, v11, v6
	;; [unrolled: 1-line block ×3, first 2 shown]
	ds_read_b128 v[4:7], v90 offset:31488
	ds_read_b128 v[8:11], v89 offset:15104
	v_add_nc_u32_e32 v18, s40, v18
	v_lshlrev_b32_e32 v19, 1, v18
	s_waitcnt lgkmcnt(2)
	v_dot2c_f32_f16 v88, v0, v12
	v_dot2c_f32_f16 v87, v0, v13
	buffer_load_dwordx2 v[113:114], v19, s[16:19], 0 offen
	v_add_lshl_u32 v19, v18, s0, 1
	v_add_nc_u32_e32 v18, s40, v18
	v_dot2c_f32_f16 v61, v0, v14
	v_dot2c_f32_f16 v60, v0, v15
	;; [unrolled: 1-line block ×3, first 2 shown]
	buffer_load_dwordx2 v[115:116], v19, s[16:19], 0 offen
	v_dot2c_f32_f16 v83, v1, v13
	s_waitcnt lgkmcnt(1)
	v_dot2c_f32_f16 v86, v0, v4
	v_dot2c_f32_f16 v85, v0, v5
	;; [unrolled: 1-line block ×4, first 2 shown]
	v_add_lshl_u32 v0, v18, s0, 1
	v_dot2c_f32_f16 v50, v1, v14
	v_dot2c_f32_f16 v49, v1, v15
	;; [unrolled: 1-line block ×4, first 2 shown]
	buffer_load_dwordx2 v[119:120], v0, s[16:19], 0 offen
	v_lshlrev_b32_e32 v19, 1, v18
	v_dot2c_f32_f16 v48, v2, v14
	v_dot2c_f32_f16 v47, v2, v15
	;; [unrolled: 1-line block ×4, first 2 shown]
	buffer_load_dwordx2 v[117:118], v19, s[16:19], 0 offen
	v_dot2c_f32_f16 v42, v3, v14
	v_dot2c_f32_f16 v41, v3, v15
	;; [unrolled: 1-line block ×14, first 2 shown]
	ds_read_b128 v[0:3], v89 offset:15360
	s_waitcnt lgkmcnt(1)
	v_dot2c_f32_f16 v72, v8, v12
	v_dot2c_f32_f16 v71, v8, v13
	;; [unrolled: 1-line block ×15, first 2 shown]
	ds_read_b128 v[18:21], v90 offset:31744
	v_dot2c_f32_f16 v40, v11, v15
	v_dot2c_f32_f16 v70, v8, v4
	;; [unrolled: 1-line block ×15, first 2 shown]
	ds_read_b128 v[12:15], v90 offset:32000
	v_dot2c_f32_f16 v37, v11, v6
	v_dot2c_f32_f16 v38, v11, v7
	ds_read_b128 v[4:7], v89 offset:15616
	s_waitcnt lgkmcnt(2)
	v_dot2c_f32_f16 v88, v0, v18
	v_dot2c_f32_f16 v87, v0, v19
	;; [unrolled: 1-line block ×16, first 2 shown]
	s_waitcnt lgkmcnt(1)
	v_dot2c_f32_f16 v86, v0, v12
	v_dot2c_f32_f16 v85, v0, v13
	;; [unrolled: 1-line block ×16, first 2 shown]
	ds_read_b128 v[0:3], v89 offset:15872
	s_waitcnt lgkmcnt(1)
	v_dot2c_f32_f16 v72, v4, v18
	v_dot2c_f32_f16 v71, v4, v19
	;; [unrolled: 1-line block ×15, first 2 shown]
	ds_read_b128 v[8:11], v90 offset:32256
	v_dot2c_f32_f16 v40, v7, v21
	v_dot2c_f32_f16 v70, v4, v12
	;; [unrolled: 1-line block ×17, first 2 shown]
	ds_read_b128 v[4:7], v89 offset:16128
	ds_read_b128 v[18:21], v90 offset:32512
	v_cmp_gt_i32_e64 s0, s33, v16
	s_waitcnt lgkmcnt(2)
	v_dot2c_f32_f16 v61, v0, v10
	v_dot2c_f32_f16 v50, v1, v10
	;; [unrolled: 1-line block ×4, first 2 shown]
	s_and_b32 s1, s0, vcc_lo
	v_dot2c_f32_f16 v88, v0, v8
	v_dot2c_f32_f16 v87, v0, v9
	;; [unrolled: 1-line block ×6, first 2 shown]
	v_or_b32_e32 v12, 1, v16
	v_dot2c_f32_f16 v83, v1, v9
	v_dot2c_f32_f16 v49, v1, v11
	;; [unrolled: 1-line block ×5, first 2 shown]
	s_waitcnt lgkmcnt(1)
	v_dot2c_f32_f16 v26, v4, v10
	v_dot2c_f32_f16 v32, v5, v10
	;; [unrolled: 1-line block ×4, first 2 shown]
	v_add_nc_u32_e32 v10, 64, v17
	s_waitcnt lgkmcnt(0)
	v_dot2c_f32_f16 v86, v0, v18
	v_dot2c_f32_f16 v85, v0, v19
	;; [unrolled: 1-line block ×19, first 2 shown]
	s_waitcnt vmcnt(15)
	v_cndmask_b32_e64 v8, 0, v23, s1
	v_cndmask_b32_e64 v0, 0, v22, s1
	v_cmp_gt_i32_e64 s1, s39, v10
	v_dot2c_f32_f16 v40, v7, v11
	v_dot2c_f32_f16 v75, v3, v9
	;; [unrolled: 1-line block ×3, first 2 shown]
	v_cvt_f32_f16_e32 v1, v0
	s_and_b32 s0, s0, s1
	v_cvt_f32_f16_sdwa v0, v0 dst_sel:DWORD dst_unused:UNUSED_PAD src0_sel:WORD_1
	s_waitcnt vmcnt(14)
	v_cndmask_b32_e64 v2, 0, v91, s0
	v_cndmask_b32_e64 v11, 0, v92, s0
	v_cmp_gt_i32_e64 s0, s33, v12
	v_dot2c_f32_f16 v73, v3, v19
	v_dot2c_f32_f16 v43, v3, v20
	;; [unrolled: 1-line block ×3, first 2 shown]
	v_add_f32_e32 v1, v88, v1
	v_add_f32_e32 v0, v87, v0
	v_cvt_f32_f16_e32 v3, v2
	s_and_b32 s2, s0, vcc_lo
	v_dot2c_f32_f16 v71, v4, v9
	v_dot2c_f32_f16 v66, v5, v9
	v_dot2c_f32_f16 v58, v6, v9
	v_dot2c_f32_f16 v68, v7, v9
	v_max_f32_e32 v9, 0, v1
	v_max_f32_e32 v13, 0, v0
	v_add_f32_e32 v0, v86, v3
	s_waitcnt vmcnt(13)
	v_cndmask_b32_e64 v1, 0, v93, s2
	v_dot2c_f32_f16 v69, v4, v19
	v_dot2c_f32_f16 v63, v5, v19
	;; [unrolled: 1-line block ×4, first 2 shown]
	v_or_b32_e32 v19, 2, v16
	v_dot2c_f32_f16 v70, v4, v18
	v_dot2c_f32_f16 v65, v5, v18
	;; [unrolled: 1-line block ×4, first 2 shown]
	s_and_b32 s0, s0, s1
	v_max_f32_e32 v18, 0, v0
	v_cvt_f32_f16_e32 v0, v1
	v_cvt_f32_f16_sdwa v1, v1 dst_sel:DWORD dst_unused:UNUSED_PAD src0_sel:WORD_1
	s_waitcnt vmcnt(12)
	v_cndmask_b32_e64 v3, 0, v95, s0
	v_cvt_f32_f16_sdwa v2, v2 dst_sel:DWORD dst_unused:UNUSED_PAD src0_sel:WORD_1
	v_cndmask_b32_e64 v15, 0, v96, s0
	v_cmp_gt_i32_e64 s0, s33, v19
	v_add_f32_e32 v0, v84, v0
	v_add_f32_e32 v1, v83, v1
	v_dot2c_f32_f16 v28, v4, v20
	v_dot2c_f32_f16 v27, v4, v21
	v_cvt_f32_f16_e32 v4, v3
	v_add_f32_e32 v2, v85, v2
	v_cndmask_b32_e64 v14, 0, v94, s2
	s_and_b32 s2, s0, vcc_lo
	v_dot2c_f32_f16 v29, v5, v21
	v_dot2c_f32_f16 v35, v6, v21
	;; [unrolled: 1-line block ×3, first 2 shown]
	v_max_f32_e32 v21, 0, v0
	v_max_f32_e32 v22, 0, v1
	v_cvt_f32_f16_sdwa v0, v3 dst_sel:DWORD dst_unused:UNUSED_PAD src0_sel:WORD_1
	s_waitcnt vmcnt(11)
	v_cndmask_b32_e64 v1, 0, v97, s2
	s_and_b32 s0, s0, s1
	v_or_b32_e32 v83, 3, v16
	v_dot2c_f32_f16 v30, v5, v20
	v_dot2c_f32_f16 v36, v6, v20
	;; [unrolled: 1-line block ×3, first 2 shown]
	v_add_f32_e32 v4, v82, v4
	v_max_f32_e32 v20, 0, v2
	s_waitcnt vmcnt(10)
	v_cndmask_b32_e64 v2, 0, v99, s0
	v_cndmask_b32_e64 v82, 0, v100, s0
	v_add_f32_e32 v0, v81, v0
	v_cvt_f32_f16_e32 v3, v1
	v_cmp_gt_i32_e64 s0, s33, v83
	v_max_f32_e32 v23, 0, v4
	v_cvt_f32_f16_sdwa v1, v1 dst_sel:DWORD dst_unused:UNUSED_PAD src0_sel:WORD_1
	v_cvt_f32_f16_e32 v4, v2
	v_cndmask_b32_e64 v24, 0, v98, s2
	v_max_f32_e32 v81, 0, v0
	v_add_f32_e32 v0, v80, v3
	s_and_b32 s2, s0, vcc_lo
	v_add_f32_e32 v1, v79, v1
	v_add_f32_e32 v3, v78, v4
	s_waitcnt vmcnt(8)
	v_cndmask_b32_e64 v4, 0, v101, s2
	v_max_f32_e32 v79, 0, v0
	s_and_b32 s0, s0, s1
	v_or_b32_e32 v0, 64, v16
	v_max_f32_e32 v80, 0, v1
	v_max_f32_e32 v84, 0, v3
	v_cvt_f32_f16_sdwa v1, v2 dst_sel:DWORD dst_unused:UNUSED_PAD src0_sel:WORD_1
	v_cvt_f32_f16_e32 v2, v4
	v_cvt_f32_f16_sdwa v3, v4 dst_sel:DWORD dst_unused:UNUSED_PAD src0_sel:WORD_1
	v_cndmask_b32_e64 v4, 0, v103, s0
	v_cndmask_b32_e64 v85, 0, v104, s0
	v_cmp_gt_i32_e64 s0, s33, v0
	v_add_f32_e32 v1, v77, v1
	v_add_f32_e32 v2, v76, v2
	v_cvt_f32_f16_e32 v5, v4
	v_cvt_f32_f16_sdwa v4, v4 dst_sel:DWORD dst_unused:UNUSED_PAD src0_sel:WORD_1
	v_cndmask_b32_e64 v78, 0, v102, s2
	s_and_b32 s2, s0, vcc_lo
	s_and_b32 s0, s0, s1
	v_add_f32_e32 v3, v75, v3
	s_waitcnt vmcnt(6)
	v_cndmask_b32_e64 v7, 0, v107, s0
	v_add_f32_e32 v73, v73, v4
	v_add_nc_u32_e32 v4, 0x41, v16
	v_max_f32_e32 v75, 0, v1
	v_max_f32_e32 v76, 0, v2
	v_add_f32_e32 v1, v74, v5
	v_cndmask_b32_e64 v2, 0, v105, s2
	v_cndmask_b32_e64 v5, 0, v108, s0
	v_cvt_f32_f16_e32 v6, v7
	v_cmp_gt_i32_e64 s0, s33, v4
	v_cvt_f32_f16_sdwa v7, v7 dst_sel:DWORD dst_unused:UNUSED_PAD src0_sel:WORD_1
	v_max_f32_e32 v74, 0, v1
	v_cvt_f32_f16_e32 v1, v2
	v_max_f32_e32 v77, 0, v3
	v_cndmask_b32_e64 v3, 0, v106, s2
	s_and_b32 s2, s0, vcc_lo
	v_add_f32_e32 v7, v69, v7
	v_add_nc_u32_e32 v69, 0x42, v16
	v_add_f32_e32 v1, v72, v1
	s_and_b32 s0, s0, s1
	s_waitcnt vmcnt(5)
	v_cndmask_b32_e64 v72, 0, v109, s2
	v_cvt_f32_f16_sdwa v2, v2 dst_sel:DWORD dst_unused:UNUSED_PAD src0_sel:WORD_1
	v_add_f32_e32 v6, v70, v6
	v_max_f32_e32 v70, 0, v73
	s_waitcnt vmcnt(4)
	v_cndmask_b32_e64 v73, 0, v112, s0
	v_cndmask_b32_e64 v86, 0, v111, s0
	v_cmp_gt_i32_e64 s0, s33, v69
	v_cvt_f32_f16_e32 v87, v72
	v_add_f32_e32 v2, v71, v2
	v_cndmask_b32_e64 v71, 0, v110, s2
	v_cvt_f32_f16_e32 v88, v86
	s_and_b32 s2, s0, vcc_lo
	v_max_f32_e32 v89, 0, v7
	v_add_f32_e32 v7, v67, v87
	v_cvt_f32_f16_sdwa v67, v86 dst_sel:DWORD dst_unused:UNUSED_PAD src0_sel:WORD_1
	s_and_b32 s0, s0, s1
	s_waitcnt vmcnt(3)
	v_cndmask_b32_e64 v86, 0, v113, s2
	v_add_f32_e32 v65, v65, v88
	v_max_f32_e32 v87, 0, v7
	v_add_f32_e32 v7, v63, v67
	v_cvt_f16_f32_e32 v9, v9
	v_cvt_f32_f16_e32 v63, v86
	v_cvt_f32_f16_sdwa v67, v86 dst_sel:DWORD dst_unused:UNUSED_PAD src0_sel:WORD_1
	v_add_nc_u32_e32 v86, 0x43, v16
	s_waitcnt vmcnt(2)
	v_cndmask_b32_e64 v88, 0, v116, s0
	v_cndmask_b32_e64 v90, 0, v115, s0
	v_max_f32_e32 v91, 0, v7
	v_add_f32_e32 v7, v59, v63
	v_cmp_gt_i32_e64 s0, s33, v86
	v_add_f32_e32 v58, v58, v67
	v_cvt_f32_f16_e32 v59, v90
	v_cvt_f32_f16_sdwa v63, v90 dst_sel:DWORD dst_unused:UNUSED_PAD src0_sel:WORD_1
	v_max_f32_e32 v92, 0, v7
	s_and_b32 vcc_lo, s0, vcc_lo
	v_cvt_f16_f32_e32 v13, v13
	v_add_f32_e32 v7, v57, v59
	v_add_f32_e32 v56, v56, v63
	v_cvt_f32_f16_sdwa v72, v72 dst_sel:DWORD dst_unused:UNUSED_PAD src0_sel:WORD_1
	v_max_f32_e32 v58, 0, v58
	s_waitcnt vmcnt(0)
	v_cndmask_b32_e32 v90, 0, v117, vcc_lo
	v_cndmask_b32_e32 v67, 0, v118, vcc_lo
	s_and_b32 vcc_lo, s0, s1
	v_max_f32_e32 v93, 0, v7
	v_cndmask_b32_e32 v63, 0, v119, vcc_lo
	v_cvt_f32_f16_e32 v57, v90
	v_cvt_f32_f16_sdwa v90, v90 dst_sel:DWORD dst_unused:UNUSED_PAD src0_sel:WORD_1
	v_cndmask_b32_e32 v59, 0, v120, vcc_lo
	v_cmp_gt_i32_e32 vcc_lo, s15, v17
	v_cmp_gt_i32_e64 s1, s28, v16
	v_add_f32_e32 v7, v55, v57
	v_cvt_f32_f16_e32 v55, v63
	v_add_f32_e32 v57, v68, v90
	v_cvt_f32_f16_sdwa v68, v8 dst_sel:DWORD dst_unused:UNUSED_PAD src0_sel:WORD_1
	v_cvt_f32_f16_e32 v8, v8
	v_max_f32_e32 v90, 0, v7
	v_add_f32_e32 v7, v64, v55
	v_max_f32_e32 v55, 0, v57
	v_add_f32_e32 v57, v60, v68
	v_add_f32_e32 v8, v61, v8
	v_cvt_f32_f16_sdwa v60, v63 dst_sel:DWORD dst_unused:UNUSED_PAD src0_sel:WORD_1
	v_max_f32_e32 v61, 0, v7
	v_mul_lo_u32 v7, v16, s34
	s_and_b32 s0, s1, vcc_lo
	v_max_f32_e32 v8, 0, v8
	v_add_f32_e32 v60, v62, v60
	v_cndmask_b32_e64 v16, 0x80000000, 0, s0
	v_cmp_gt_i32_e64 s0, s15, v10
	v_max_f32_e32 v57, 0, v57
	v_cvt_f16_f32_e32 v62, v8
	v_mad_u64_u32 v[7:8], null, v17, s35, v[7:8]
	v_pack_b32_f16 v8, v9, v13
	v_cvt_f32_f16_sdwa v13, v11 dst_sel:DWORD dst_unused:UNUSED_PAD src0_sel:WORD_1
	v_cvt_f32_f16_e32 v11, v11
	v_add_f32_e32 v66, v66, v72
	v_cndmask_b32_e64 v72, 0, v114, s2
	s_lshl_b32 s2, s35, 6
	v_add_f32_e32 v13, v53, v13
	v_add_f32_e32 v11, v54, v11
	s_and_b32 s1, s1, s0
	v_cvt_f16_f32_e32 v57, v57
	v_cvt_f16_f32_e32 v10, v18
	v_max_f32_e32 v13, 0, v13
	v_max_f32_e32 v11, 0, v11
	v_cvt_f16_f32_e32 v18, v20
	v_add_nc_u32_e32 v17, s2, v7
	v_cndmask_b32_e64 v20, 0x80000000, 0, s1
	v_cvt_f16_f32_e32 v13, v13
	v_cvt_f16_f32_e32 v11, v11
	v_pack_b32_f16 v9, v62, v57
	v_lshl_add_u32 v16, v7, 1, v16
	v_pack_b32_f16 v10, v10, v18
	v_cvt_f32_f16_sdwa v18, v15 dst_sel:DWORD dst_unused:UNUSED_PAD src0_sel:WORD_1
	v_cvt_f32_f16_e32 v15, v15
	v_pack_b32_f16 v11, v11, v13
	v_lshl_add_u32 v13, v17, 1, v20
	s_mov_b32 s15, s19
	v_add_f32_e32 v18, v52, v18
	buffer_store_dwordx2 v[8:9], v16, s[12:15], 0 offen
	buffer_store_dwordx2 v[10:11], v13, s[12:15], 0 offen
	v_add_f32_e32 v8, v51, v15
	v_cmp_gt_i32_e64 s1, s28, v12
	v_cvt_f32_f16_sdwa v12, v14 dst_sel:DWORD dst_unused:UNUSED_PAD src0_sel:WORD_1
	v_cvt_f32_f16_e32 v13, v14
	v_max_f32_e32 v9, 0, v18
	v_cvt_f16_f32_e32 v10, v23
	v_cvt_f16_f32_e32 v11, v81
	v_max_f32_e32 v8, 0, v8
	v_add_f32_e32 v12, v49, v12
	v_add_f32_e32 v13, v50, v13
	s_and_b32 s3, s1, s0
	v_add_nc_u32_e32 v15, s34, v17
	v_cvt_f16_f32_e32 v9, v9
	v_cvt_f16_f32_e32 v14, v8
	v_cndmask_b32_e64 v16, 0x80000000, 0, s3
	v_pack_b32_f16 v8, v10, v11
	v_max_f32_e32 v10, 0, v12
	v_max_f32_e32 v11, 0, v13
	v_cvt_f16_f32_e32 v12, v21
	v_cvt_f16_f32_e32 v13, v22
	v_cvt_f32_f16_sdwa v17, v24 dst_sel:DWORD dst_unused:UNUSED_PAD src0_sel:WORD_1
	v_cvt_f32_f16_e32 v18, v24
	v_pack_b32_f16 v9, v14, v9
	v_lshl_add_u32 v14, v15, 1, v16
	v_cvt_f16_f32_e32 v16, v10
	v_pack_b32_f16 v10, v12, v13
	v_add_f32_e32 v12, v47, v17
	v_add_f32_e32 v13, v48, v18
	s_and_b32 s1, s1, vcc_lo
	v_add_nc_u32_e32 v7, s34, v7
	v_cndmask_b32_e64 v20, 0x80000000, 0, s1
	v_cmp_gt_i32_e64 s1, s28, v19
	v_cvt_f16_f32_e32 v11, v11
	v_max_f32_e32 v12, 0, v12
	v_max_f32_e32 v13, 0, v13
	v_cvt_f16_f32_e32 v17, v79
	s_and_b32 s3, s1, vcc_lo
	v_cvt_f16_f32_e32 v18, v80
	v_cvt_f32_f16_sdwa v21, v82 dst_sel:DWORD dst_unused:UNUSED_PAD src0_sel:WORD_1
	v_pack_b32_f16 v11, v11, v16
	v_lshl_add_u32 v16, v7, 1, v20
	v_add_nc_u32_e32 v7, s34, v7
	v_cvt_f16_f32_e32 v19, v12
	v_cvt_f16_f32_e32 v13, v13
	v_cndmask_b32_e64 v20, 0x80000000, 0, s3
	v_pack_b32_f16 v12, v17, v18
	v_cvt_f32_f16_e32 v17, v82
	v_add_f32_e32 v18, v46, v21
	v_pack_b32_f16 v13, v13, v19
	v_lshl_add_u32 v7, v7, 1, v20
	buffer_store_dwordx2 v[8:9], v14, s[12:15], 0 offen
	v_add_f32_e32 v8, v45, v17
	buffer_store_dwordx2 v[10:11], v16, s[12:15], 0 offen
	buffer_store_dwordx2 v[12:13], v7, s[12:15], 0 offen
	v_max_f32_e32 v7, 0, v18
	v_cvt_f16_f32_e32 v9, v84
	v_max_f32_e32 v8, 0, v8
	v_cvt_f16_f32_e32 v10, v75
	v_cvt_f32_f16_e32 v12, v85
	v_cvt_f16_f32_e32 v11, v7
	v_cvt_f32_f16_sdwa v7, v85 dst_sel:DWORD dst_unused:UNUSED_PAD src0_sel:WORD_1
	v_add_nc_u32_e32 v13, s34, v15
	v_cvt_f16_f32_e32 v8, v8
	v_cvt_f32_f16_sdwa v16, v78 dst_sel:DWORD dst_unused:UNUSED_PAD src0_sel:WORD_1
	v_cvt_f32_f16_e32 v17, v78
	v_add_f32_e32 v15, v44, v7
	v_pack_b32_f16 v7, v9, v10
	v_add_f32_e32 v9, v43, v12
	v_pack_b32_f16 v8, v8, v11
	v_cvt_f16_f32_e32 v11, v74
	v_max_f32_e32 v10, 0, v15
	v_cvt_f16_f32_e32 v12, v70
	v_max_f32_e32 v9, 0, v9
	s_and_b32 s1, s1, s0
	v_add_nc_u32_e32 v15, s34, v13
	v_cndmask_b32_e64 v14, 0x80000000, 0, s1
	v_cvt_f16_f32_e32 v10, v10
	v_cvt_f16_f32_e32 v18, v9
	v_pack_b32_f16 v9, v11, v12
	v_add_f32_e32 v11, v41, v16
	v_add_f32_e32 v12, v42, v17
	v_cmp_gt_i32_e64 s1, s28, v83
	v_lshl_add_u32 v14, v13, 1, v14
	v_pack_b32_f16 v10, v18, v10
	v_max_f32_e32 v11, 0, v11
	v_max_f32_e32 v12, 0, v12
	v_cvt_f16_f32_e32 v18, v76
	v_cvt_f16_f32_e32 v19, v77
	s_and_b32 s3, s1, s0
	s_and_b32 s1, s1, vcc_lo
	v_cndmask_b32_e64 v16, 0x80000000, 0, s3
	v_subrev_nc_u32_e32 v17, s2, v15
	v_cvt_f16_f32_e32 v20, v11
	v_cvt_f16_f32_e32 v12, v12
	v_cndmask_b32_e64 v21, 0x80000000, 0, s1
	v_pack_b32_f16 v11, v18, v19
	v_cvt_f32_f16_sdwa v18, v67 dst_sel:DWORD dst_unused:UNUSED_PAD src0_sel:WORD_1
	buffer_store_dwordx2 v[7:8], v14, s[12:15], 0 offen
	v_cvt_f32_f16_e32 v7, v67
	v_lshl_add_u32 v16, v15, 1, v16
	v_pack_b32_f16 v12, v12, v20
	v_lshl_add_u32 v19, v17, 1, v21
	v_add_f32_e32 v8, v40, v18
	v_add_f32_e32 v7, v39, v7
	v_cmp_gt_i32_e64 s1, s28, v86
	buffer_store_dwordx2 v[9:10], v16, s[12:15], 0 offen
	buffer_store_dwordx2 v[11:12], v19, s[12:15], 0 offen
	v_max_f32_e32 v8, 0, v8
	v_max_f32_e32 v7, 0, v7
	v_cvt_f32_f16_sdwa v12, v59 dst_sel:DWORD dst_unused:UNUSED_PAD src0_sel:WORD_1
	v_cvt_f32_f16_e32 v14, v59
	s_lshl_b32 s3, s34, 6
	s_and_b32 s4, s1, vcc_lo
	v_max_f32_e32 v60, 0, v60
	v_add_nc_u32_e32 v9, s3, v17
	v_cvt_f16_f32_e32 v10, v90
	v_cvt_f16_f32_e32 v11, v55
	;; [unrolled: 1-line block ×4, first 2 shown]
	v_cndmask_b32_e64 v17, 0x80000000, 0, s4
	v_add_f32_e32 v12, v38, v12
	v_add_f32_e32 v14, v37, v14
	v_pack_b32_f16 v7, v10, v11
	v_pack_b32_f16 v8, v16, v8
	v_lshl_add_u32 v16, v9, 1, v17
	v_max_f32_e32 v9, 0, v12
	v_max_f32_e32 v10, 0, v14
	v_cvt_f16_f32_e32 v12, v61
	v_cvt_f16_f32_e32 v14, v60
	v_cvt_f32_f16_sdwa v17, v88 dst_sel:DWORD dst_unused:UNUSED_PAD src0_sel:WORD_1
	v_cvt_f32_f16_e32 v18, v88
	s_and_b32 s1, s1, s0
	v_max_f32_e32 v56, 0, v56
	v_add_nc_u32_e32 v11, s3, v15
	v_cvt_f16_f32_e32 v15, v9
	v_cvt_f16_f32_e32 v10, v10
	v_cndmask_b32_e64 v19, 0x80000000, 0, s1
	v_pack_b32_f16 v9, v12, v14
	v_add_f32_e32 v12, v35, v17
	v_add_f32_e32 v14, v36, v18
	v_cmp_ge_i32_e64 s1, s28, v86
	v_pack_b32_f16 v10, v10, v15
	v_lshl_add_u32 v15, v11, 1, v19
	v_max_f32_e32 v11, 0, v12
	v_max_f32_e32 v12, 0, v14
	v_cvt_f16_f32_e32 v14, v93
	v_cvt_f16_f32_e32 v17, v56
	s_and_b32 s1, s1, s0
	v_cvt_f16_f32_e32 v18, v11
	v_add_nc_u32_e32 v13, s3, v13
	v_cvt_f16_f32_e32 v12, v12
	v_pack_b32_f16 v11, v14, v17
	v_cvt_f32_f16_sdwa v14, v72 dst_sel:DWORD dst_unused:UNUSED_PAD src0_sel:WORD_1
	v_cndmask_b32_e64 v19, 0x80000000, 0, s1
	buffer_store_dwordx2 v[7:8], v16, s[12:15], 0 offen
	v_pack_b32_f16 v12, v12, v18
	v_cmp_gt_i32_e64 s1, s28, v69
	v_add_f32_e32 v7, v33, v14
	v_lshl_add_u32 v18, v13, 1, v19
	buffer_store_dwordx2 v[9:10], v15, s[12:15], 0 offen
	buffer_store_dwordx2 v[11:12], v18, s[12:15], 0 offen
	v_subrev_nc_u32_e32 v9, s2, v13
	v_max_f32_e32 v7, 0, v7
	v_cvt_f16_f32_e32 v10, v92
	v_cvt_f16_f32_e32 v11, v58
	v_cvt_f32_f16_e32 v13, v71
	v_cvt_f32_f16_sdwa v14, v71 dst_sel:DWORD dst_unused:UNUSED_PAD src0_sel:WORD_1
	s_and_b32 s1, s1, vcc_lo
	v_cvt_f32_f16_e32 v17, v72
	v_cvt_f16_f32_e32 v12, v7
	v_cndmask_b32_e64 v15, 0x80000000, 0, s1
	v_pack_b32_f16 v7, v10, v11
	v_add_f32_e32 v10, v31, v14
	v_add_f32_e32 v11, v32, v13
	v_add_f32_e32 v8, v34, v17
	v_lshl_add_u32 v13, v9, 1, v15
	v_cvt_f32_f16_e32 v14, v73
	v_max_f32_e32 v10, 0, v10
	v_max_f32_e32 v11, 0, v11
	v_cvt_f32_f16_sdwa v15, v73 dst_sel:DWORD dst_unused:UNUSED_PAD src0_sel:WORD_1
	v_max_f32_e32 v8, 0, v8
	v_add_f32_e32 v14, v30, v14
	v_cvt_f16_f32_e32 v10, v10
	v_cvt_f16_f32_e32 v11, v11
	v_add_f32_e32 v15, v29, v15
	v_cmp_ge_i32_e64 s1, s28, v69
	v_max_f32_e32 v66, 0, v66
	v_cvt_f16_f32_e32 v8, v8
	v_pack_b32_f16 v10, v11, v10
	v_max_f32_e32 v11, 0, v14
	v_max_f32_e32 v14, 0, v15
	s_and_b32 s1, s1, vcc_lo
	v_max_f32_e32 v65, 0, v65
	v_pack_b32_f16 v8, v8, v12
	v_subrev_nc_u32_e32 v12, s34, v9
	v_cvt_f16_f32_e32 v9, v87
	v_cvt_f16_f32_e32 v16, v66
	v_cndmask_b32_e64 v15, 0x80000000, 0, s1
	v_cvt_f16_f32_e32 v14, v14
	v_cvt_f16_f32_e32 v18, v11
	v_max_f32_e32 v6, 0, v6
	v_pack_b32_f16 v9, v9, v16
	v_cvt_f16_f32_e32 v16, v65
	v_cvt_f16_f32_e32 v17, v91
	v_lshl_add_u32 v15, v12, 1, v15
	v_add_nc_u32_e32 v19, s2, v12
	v_pack_b32_f16 v12, v18, v14
	v_cvt_f32_f16_e32 v14, v5
	v_cvt_f32_f16_sdwa v5, v5 dst_sel:DWORD dst_unused:UNUSED_PAD src0_sel:WORD_1
	v_cmp_gt_i32_e64 s1, s28, v4
	v_pack_b32_f16 v11, v16, v17
	v_cvt_f16_f32_e32 v6, v6
	v_cvt_f16_f32_e32 v17, v89
	v_add_f32_e32 v18, v27, v5
	v_add_f32_e32 v14, v28, v14
	s_and_b32 s1, s1, s0
	v_max_f32_e32 v1, 0, v1
	v_pack_b32_f16 v5, v6, v17
	v_max_f32_e32 v6, 0, v18
	v_max_f32_e32 v14, 0, v14
	v_cvt_f32_f16_sdwa v17, v3 dst_sel:DWORD dst_unused:UNUSED_PAD src0_sel:WORD_1
	v_cvt_f32_f16_e32 v3, v3
	v_cndmask_b32_e64 v16, 0x80000000, 0, s1
	v_cmp_ge_i32_e64 s1, s28, v4
	v_cvt_f16_f32_e32 v4, v6
	v_cvt_f16_f32_e32 v6, v14
	v_add_f32_e32 v14, v25, v17
	v_add_f32_e32 v3, v26, v3
	s_and_b32 s0, s1, s0
	v_max_f32_e32 v2, 0, v2
	v_cndmask_b32_e64 v17, 0x80000000, 0, s0
	v_cmp_gt_i32_e64 s0, s28, v0
	v_lshl_add_u32 v16, v19, 1, v16
	v_subrev_nc_u32_e32 v19, s34, v19
	v_max_f32_e32 v14, 0, v14
	v_max_f32_e32 v3, 0, v3
	s_and_b32 s0, s0, vcc_lo
	v_cvt_f16_f32_e32 v0, v1
	v_subrev_nc_u32_e32 v18, s2, v19
	v_cvt_f16_f32_e32 v1, v2
	v_cvt_f16_f32_e32 v2, v14
	;; [unrolled: 1-line block ×3, first 2 shown]
	v_cndmask_b32_e64 v14, 0x80000000, 0, s0
	v_pack_b32_f16 v6, v6, v4
	v_lshl_add_u32 v4, v19, 1, v17
	v_pack_b32_f16 v0, v0, v1
	v_pack_b32_f16 v1, v3, v2
	v_lshl_add_u32 v2, v18, 1, v14
	buffer_store_dwordx2 v[7:8], v13, s[12:15], 0 offen
	buffer_store_dwordx2 v[9:10], v15, s[12:15], 0 offen
	;; [unrolled: 1-line block ×5, first 2 shown]
	s_endpgm
	.section	.rodata,"a",@progbits
	.p2align	6, 0x0
	.amdhsa_kernel _ZN2ck16tensor_operation6device12_GLOBAL__N_137kernel_grouped_conv_fwd_dl_multiple_dINS_32GridwiseGemmDlMultipleD_km_kn_mnILi256EDF16_fNS_5TupleIJDF16_EEEDF16_NS0_12element_wise11PassThroughES8_NS7_7AddReluELNS_25InMemoryDataOperationEnumE0ENS_16TensorDescriptorINS5_IJNS_5EmbedINS5_IJiiiiiEEESD_Lb0EEENS_11PassThroughIiEENS_3PadIiiiLb0EEESI_SI_SG_SG_NSC_INS5_IJiiEEESJ_Lb0EEESK_SK_SG_NS_23Merge_v2_magic_divisionINS5_IJiiiiEEEEESN_NS_8RightPadIiiLb0EEESP_NS_7UnMergeISJ_Lb0EEESG_EEENS5_IJNS_8SequenceIJLi0EEEENST_IJLi1EEEENST_IJLi2EEEENST_IJLi3EEEENST_IJLi4EEEENST_IJLi5EEEENST_IJLi6EEEENST_IJLi7EEEENST_IJLi8EEEENST_IJLi9EEEENST_IJLi10EEEENST_IJLi11ELi13ELi15ELi17EEEENST_IJLi12ELi14ELi16ELi18EEEENST_IJLi19EEEENST_IJLi20EEEENST_IJLi22EEEENST_IJLi21EEEEEEENS5_IJNST_IJLi1ELi2ELi3ELi4ELi5EEEES10_S11_S12_S13_S14_NST_IJLi11EEEENST_IJLi12ELi13EEEENST_IJLi14ELi15EEEENST_IJLi16ELi17EEEENST_IJLi18EEEES17_S18_S1A_S19_NST_IJLi23ELi24EEEENST_IJLi25EEEEEEENST_IJLi23ELi25ELi24EEEElEENSB_INS5_IJSR_SP_SP_SR_SG_EEENS5_IJSU_SV_SW_SY_SX_EEENS5_IJNST_IJLi1ELi2EEEESX_SY_NST_IJLi5ELi6EEEES11_EEENST_IJLi5ELi7ELi6EEEElEENSB_INS5_IJSK_SP_SP_EEENS5_IJSU_SV_SW_EEENS5_IJS1P_SX_SY_EEENST_IJLi3ELi4EEEElEELi128ELi128ELi16ELi2ELi4ELi4ELi1ENST_IJLi8ELi2EEEES1Z_NST_IJLi8ELi1ELi1ELi2EEEENST_IJLi2ELi1ELi128ELi1EEEENST_IJLi1ELi2ELi0ELi3EEEES22_NST_IJLi4ELi1ELi1ELi2EEEES22_NST_IJLi1ELi1ELi1ELi2EEEES20_S21_S22_S22_S23_S22_S24_NST_IJLi0ELi1ELi2ELi3ELi4ELi5EEEELi5ELi4EEEDF16_NS5_IJPKDF16_EEEDF16_S8_S8_S9_NSB_INS5_IJSE_SG_SI_SI_SI_SG_SG_SK_SK_SK_SG_SN_SN_SP_SP_SR_SG_SG_NSQ_INS5_IJiNS_17integral_constantIiLi128EEEEEELb0EEENSF_INS2A_IiLi2EEEEEEEENS5_IJSU_SV_SW_SX_SY_SZ_S10_S11_S12_S13_S14_S15_S16_S17_S18_S19_S1A_NST_IJLi23EEEES1J_NST_IJLi24EEEEEEENS5_IJS1C_S10_S11_S12_S13_S14_S1D_S1E_S1F_S1G_S1H_S17_S18_S1A_S19_S1I_S1J_NST_IJLi26EEEENST_IJLi27ELi28EEEENST_IJLi29EEEEEEENST_IJLi26ELi27ELi28ELi29EEEElEENSB_INS5_IJSR_SP_SP_SR_SG_SG_S2D_S2F_EEENS5_IJSU_SV_SW_SY_SX_SZ_S11_S10_EEENS5_IJS1P_SX_SY_S1Q_S11_S12_NST_IJLi9ELi10EEEES1D_EEENST_IJLi8ELi9ELi10ELi11EEEElEENS5_IJNSB_INS5_IJSK_SP_SP_NSQ_INS5_IJiS2E_NS2A_IiLi64EEEEEELb0EEES2Y_EEENS5_IJSU_SV_SW_SX_SY_EEENS5_IJS1P_SX_SY_NST_IJLi5ELi6ELi7EEEENST_IJLi8ELi9ELi10EEEEEEENST_IJLi5ELi6ELi7ELi8ELi9ELi10EEEElEEEEES35_NS_31BlockToCTileMap_M00_N00_M01_N01ILi128ELi128ES1Y_Lb0EEENS1_30ComputePtrOffsetOfStridedBatchILi1ELi1ELi1EvEELb1ELb1EEEvPKT0_S3D_T1_PT2_T3_T4_T5_iT6_T7_T8_T9_T10_T11_
		.amdhsa_group_segment_fixed_size 32768
		.amdhsa_private_segment_fixed_size 0
		.amdhsa_kernarg_size 1024
		.amdhsa_user_sgpr_count 6
		.amdhsa_user_sgpr_private_segment_buffer 1
		.amdhsa_user_sgpr_dispatch_ptr 0
		.amdhsa_user_sgpr_queue_ptr 0
		.amdhsa_user_sgpr_kernarg_segment_ptr 1
		.amdhsa_user_sgpr_dispatch_id 0
		.amdhsa_user_sgpr_flat_scratch_init 0
		.amdhsa_user_sgpr_private_segment_size 0
		.amdhsa_wavefront_size32 1
		.amdhsa_uses_dynamic_stack 0
		.amdhsa_system_sgpr_private_segment_wavefront_offset 0
		.amdhsa_system_sgpr_workgroup_id_x 1
		.amdhsa_system_sgpr_workgroup_id_y 0
		.amdhsa_system_sgpr_workgroup_id_z 0
		.amdhsa_system_sgpr_workgroup_info 0
		.amdhsa_system_vgpr_workitem_id 0
		.amdhsa_next_free_vgpr 143
		.amdhsa_next_free_sgpr 79
		.amdhsa_reserve_vcc 1
		.amdhsa_reserve_flat_scratch 0
		.amdhsa_float_round_mode_32 0
		.amdhsa_float_round_mode_16_64 0
		.amdhsa_float_denorm_mode_32 3
		.amdhsa_float_denorm_mode_16_64 3
		.amdhsa_dx10_clamp 1
		.amdhsa_ieee_mode 1
		.amdhsa_fp16_overflow 0
		.amdhsa_workgroup_processor_mode 1
		.amdhsa_memory_ordered 1
		.amdhsa_forward_progress 1
		.amdhsa_shared_vgpr_count 0
		.amdhsa_exception_fp_ieee_invalid_op 0
		.amdhsa_exception_fp_denorm_src 0
		.amdhsa_exception_fp_ieee_div_zero 0
		.amdhsa_exception_fp_ieee_overflow 0
		.amdhsa_exception_fp_ieee_underflow 0
		.amdhsa_exception_fp_ieee_inexact 0
		.amdhsa_exception_int_div_zero 0
	.end_amdhsa_kernel
	.section	.text._ZN2ck16tensor_operation6device12_GLOBAL__N_137kernel_grouped_conv_fwd_dl_multiple_dINS_32GridwiseGemmDlMultipleD_km_kn_mnILi256EDF16_fNS_5TupleIJDF16_EEEDF16_NS0_12element_wise11PassThroughES8_NS7_7AddReluELNS_25InMemoryDataOperationEnumE0ENS_16TensorDescriptorINS5_IJNS_5EmbedINS5_IJiiiiiEEESD_Lb0EEENS_11PassThroughIiEENS_3PadIiiiLb0EEESI_SI_SG_SG_NSC_INS5_IJiiEEESJ_Lb0EEESK_SK_SG_NS_23Merge_v2_magic_divisionINS5_IJiiiiEEEEESN_NS_8RightPadIiiLb0EEESP_NS_7UnMergeISJ_Lb0EEESG_EEENS5_IJNS_8SequenceIJLi0EEEENST_IJLi1EEEENST_IJLi2EEEENST_IJLi3EEEENST_IJLi4EEEENST_IJLi5EEEENST_IJLi6EEEENST_IJLi7EEEENST_IJLi8EEEENST_IJLi9EEEENST_IJLi10EEEENST_IJLi11ELi13ELi15ELi17EEEENST_IJLi12ELi14ELi16ELi18EEEENST_IJLi19EEEENST_IJLi20EEEENST_IJLi22EEEENST_IJLi21EEEEEEENS5_IJNST_IJLi1ELi2ELi3ELi4ELi5EEEES10_S11_S12_S13_S14_NST_IJLi11EEEENST_IJLi12ELi13EEEENST_IJLi14ELi15EEEENST_IJLi16ELi17EEEENST_IJLi18EEEES17_S18_S1A_S19_NST_IJLi23ELi24EEEENST_IJLi25EEEEEEENST_IJLi23ELi25ELi24EEEElEENSB_INS5_IJSR_SP_SP_SR_SG_EEENS5_IJSU_SV_SW_SY_SX_EEENS5_IJNST_IJLi1ELi2EEEESX_SY_NST_IJLi5ELi6EEEES11_EEENST_IJLi5ELi7ELi6EEEElEENSB_INS5_IJSK_SP_SP_EEENS5_IJSU_SV_SW_EEENS5_IJS1P_SX_SY_EEENST_IJLi3ELi4EEEElEELi128ELi128ELi16ELi2ELi4ELi4ELi1ENST_IJLi8ELi2EEEES1Z_NST_IJLi8ELi1ELi1ELi2EEEENST_IJLi2ELi1ELi128ELi1EEEENST_IJLi1ELi2ELi0ELi3EEEES22_NST_IJLi4ELi1ELi1ELi2EEEES22_NST_IJLi1ELi1ELi1ELi2EEEES20_S21_S22_S22_S23_S22_S24_NST_IJLi0ELi1ELi2ELi3ELi4ELi5EEEELi5ELi4EEEDF16_NS5_IJPKDF16_EEEDF16_S8_S8_S9_NSB_INS5_IJSE_SG_SI_SI_SI_SG_SG_SK_SK_SK_SG_SN_SN_SP_SP_SR_SG_SG_NSQ_INS5_IJiNS_17integral_constantIiLi128EEEEEELb0EEENSF_INS2A_IiLi2EEEEEEEENS5_IJSU_SV_SW_SX_SY_SZ_S10_S11_S12_S13_S14_S15_S16_S17_S18_S19_S1A_NST_IJLi23EEEES1J_NST_IJLi24EEEEEEENS5_IJS1C_S10_S11_S12_S13_S14_S1D_S1E_S1F_S1G_S1H_S17_S18_S1A_S19_S1I_S1J_NST_IJLi26EEEENST_IJLi27ELi28EEEENST_IJLi29EEEEEEENST_IJLi26ELi27ELi28ELi29EEEElEENSB_INS5_IJSR_SP_SP_SR_SG_SG_S2D_S2F_EEENS5_IJSU_SV_SW_SY_SX_SZ_S11_S10_EEENS5_IJS1P_SX_SY_S1Q_S11_S12_NST_IJLi9ELi10EEEES1D_EEENST_IJLi8ELi9ELi10ELi11EEEElEENS5_IJNSB_INS5_IJSK_SP_SP_NSQ_INS5_IJiS2E_NS2A_IiLi64EEEEEELb0EEES2Y_EEENS5_IJSU_SV_SW_SX_SY_EEENS5_IJS1P_SX_SY_NST_IJLi5ELi6ELi7EEEENST_IJLi8ELi9ELi10EEEEEEENST_IJLi5ELi6ELi7ELi8ELi9ELi10EEEElEEEEES35_NS_31BlockToCTileMap_M00_N00_M01_N01ILi128ELi128ES1Y_Lb0EEENS1_30ComputePtrOffsetOfStridedBatchILi1ELi1ELi1EvEELb1ELb1EEEvPKT0_S3D_T1_PT2_T3_T4_T5_iT6_T7_T8_T9_T10_T11_,"axG",@progbits,_ZN2ck16tensor_operation6device12_GLOBAL__N_137kernel_grouped_conv_fwd_dl_multiple_dINS_32GridwiseGemmDlMultipleD_km_kn_mnILi256EDF16_fNS_5TupleIJDF16_EEEDF16_NS0_12element_wise11PassThroughES8_NS7_7AddReluELNS_25InMemoryDataOperationEnumE0ENS_16TensorDescriptorINS5_IJNS_5EmbedINS5_IJiiiiiEEESD_Lb0EEENS_11PassThroughIiEENS_3PadIiiiLb0EEESI_SI_SG_SG_NSC_INS5_IJiiEEESJ_Lb0EEESK_SK_SG_NS_23Merge_v2_magic_divisionINS5_IJiiiiEEEEESN_NS_8RightPadIiiLb0EEESP_NS_7UnMergeISJ_Lb0EEESG_EEENS5_IJNS_8SequenceIJLi0EEEENST_IJLi1EEEENST_IJLi2EEEENST_IJLi3EEEENST_IJLi4EEEENST_IJLi5EEEENST_IJLi6EEEENST_IJLi7EEEENST_IJLi8EEEENST_IJLi9EEEENST_IJLi10EEEENST_IJLi11ELi13ELi15ELi17EEEENST_IJLi12ELi14ELi16ELi18EEEENST_IJLi19EEEENST_IJLi20EEEENST_IJLi22EEEENST_IJLi21EEEEEEENS5_IJNST_IJLi1ELi2ELi3ELi4ELi5EEEES10_S11_S12_S13_S14_NST_IJLi11EEEENST_IJLi12ELi13EEEENST_IJLi14ELi15EEEENST_IJLi16ELi17EEEENST_IJLi18EEEES17_S18_S1A_S19_NST_IJLi23ELi24EEEENST_IJLi25EEEEEEENST_IJLi23ELi25ELi24EEEElEENSB_INS5_IJSR_SP_SP_SR_SG_EEENS5_IJSU_SV_SW_SY_SX_EEENS5_IJNST_IJLi1ELi2EEEESX_SY_NST_IJLi5ELi6EEEES11_EEENST_IJLi5ELi7ELi6EEEElEENSB_INS5_IJSK_SP_SP_EEENS5_IJSU_SV_SW_EEENS5_IJS1P_SX_SY_EEENST_IJLi3ELi4EEEElEELi128ELi128ELi16ELi2ELi4ELi4ELi1ENST_IJLi8ELi2EEEES1Z_NST_IJLi8ELi1ELi1ELi2EEEENST_IJLi2ELi1ELi128ELi1EEEENST_IJLi1ELi2ELi0ELi3EEEES22_NST_IJLi4ELi1ELi1ELi2EEEES22_NST_IJLi1ELi1ELi1ELi2EEEES20_S21_S22_S22_S23_S22_S24_NST_IJLi0ELi1ELi2ELi3ELi4ELi5EEEELi5ELi4EEEDF16_NS5_IJPKDF16_EEEDF16_S8_S8_S9_NSB_INS5_IJSE_SG_SI_SI_SI_SG_SG_SK_SK_SK_SG_SN_SN_SP_SP_SR_SG_SG_NSQ_INS5_IJiNS_17integral_constantIiLi128EEEEEELb0EEENSF_INS2A_IiLi2EEEEEEEENS5_IJSU_SV_SW_SX_SY_SZ_S10_S11_S12_S13_S14_S15_S16_S17_S18_S19_S1A_NST_IJLi23EEEES1J_NST_IJLi24EEEEEEENS5_IJS1C_S10_S11_S12_S13_S14_S1D_S1E_S1F_S1G_S1H_S17_S18_S1A_S19_S1I_S1J_NST_IJLi26EEEENST_IJLi27ELi28EEEENST_IJLi29EEEEEEENST_IJLi26ELi27ELi28ELi29EEEElEENSB_INS5_IJSR_SP_SP_SR_SG_SG_S2D_S2F_EEENS5_IJSU_SV_SW_SY_SX_SZ_S11_S10_EEENS5_IJS1P_SX_SY_S1Q_S11_S12_NST_IJLi9ELi10EEEES1D_EEENST_IJLi8ELi9ELi10ELi11EEEElEENS5_IJNSB_INS5_IJSK_SP_SP_NSQ_INS5_IJiS2E_NS2A_IiLi64EEEEEELb0EEES2Y_EEENS5_IJSU_SV_SW_SX_SY_EEENS5_IJS1P_SX_SY_NST_IJLi5ELi6ELi7EEEENST_IJLi8ELi9ELi10EEEEEEENST_IJLi5ELi6ELi7ELi8ELi9ELi10EEEElEEEEES35_NS_31BlockToCTileMap_M00_N00_M01_N01ILi128ELi128ES1Y_Lb0EEENS1_30ComputePtrOffsetOfStridedBatchILi1ELi1ELi1EvEELb1ELb1EEEvPKT0_S3D_T1_PT2_T3_T4_T5_iT6_T7_T8_T9_T10_T11_,comdat
.Lfunc_end9:
	.size	_ZN2ck16tensor_operation6device12_GLOBAL__N_137kernel_grouped_conv_fwd_dl_multiple_dINS_32GridwiseGemmDlMultipleD_km_kn_mnILi256EDF16_fNS_5TupleIJDF16_EEEDF16_NS0_12element_wise11PassThroughES8_NS7_7AddReluELNS_25InMemoryDataOperationEnumE0ENS_16TensorDescriptorINS5_IJNS_5EmbedINS5_IJiiiiiEEESD_Lb0EEENS_11PassThroughIiEENS_3PadIiiiLb0EEESI_SI_SG_SG_NSC_INS5_IJiiEEESJ_Lb0EEESK_SK_SG_NS_23Merge_v2_magic_divisionINS5_IJiiiiEEEEESN_NS_8RightPadIiiLb0EEESP_NS_7UnMergeISJ_Lb0EEESG_EEENS5_IJNS_8SequenceIJLi0EEEENST_IJLi1EEEENST_IJLi2EEEENST_IJLi3EEEENST_IJLi4EEEENST_IJLi5EEEENST_IJLi6EEEENST_IJLi7EEEENST_IJLi8EEEENST_IJLi9EEEENST_IJLi10EEEENST_IJLi11ELi13ELi15ELi17EEEENST_IJLi12ELi14ELi16ELi18EEEENST_IJLi19EEEENST_IJLi20EEEENST_IJLi22EEEENST_IJLi21EEEEEEENS5_IJNST_IJLi1ELi2ELi3ELi4ELi5EEEES10_S11_S12_S13_S14_NST_IJLi11EEEENST_IJLi12ELi13EEEENST_IJLi14ELi15EEEENST_IJLi16ELi17EEEENST_IJLi18EEEES17_S18_S1A_S19_NST_IJLi23ELi24EEEENST_IJLi25EEEEEEENST_IJLi23ELi25ELi24EEEElEENSB_INS5_IJSR_SP_SP_SR_SG_EEENS5_IJSU_SV_SW_SY_SX_EEENS5_IJNST_IJLi1ELi2EEEESX_SY_NST_IJLi5ELi6EEEES11_EEENST_IJLi5ELi7ELi6EEEElEENSB_INS5_IJSK_SP_SP_EEENS5_IJSU_SV_SW_EEENS5_IJS1P_SX_SY_EEENST_IJLi3ELi4EEEElEELi128ELi128ELi16ELi2ELi4ELi4ELi1ENST_IJLi8ELi2EEEES1Z_NST_IJLi8ELi1ELi1ELi2EEEENST_IJLi2ELi1ELi128ELi1EEEENST_IJLi1ELi2ELi0ELi3EEEES22_NST_IJLi4ELi1ELi1ELi2EEEES22_NST_IJLi1ELi1ELi1ELi2EEEES20_S21_S22_S22_S23_S22_S24_NST_IJLi0ELi1ELi2ELi3ELi4ELi5EEEELi5ELi4EEEDF16_NS5_IJPKDF16_EEEDF16_S8_S8_S9_NSB_INS5_IJSE_SG_SI_SI_SI_SG_SG_SK_SK_SK_SG_SN_SN_SP_SP_SR_SG_SG_NSQ_INS5_IJiNS_17integral_constantIiLi128EEEEEELb0EEENSF_INS2A_IiLi2EEEEEEEENS5_IJSU_SV_SW_SX_SY_SZ_S10_S11_S12_S13_S14_S15_S16_S17_S18_S19_S1A_NST_IJLi23EEEES1J_NST_IJLi24EEEEEEENS5_IJS1C_S10_S11_S12_S13_S14_S1D_S1E_S1F_S1G_S1H_S17_S18_S1A_S19_S1I_S1J_NST_IJLi26EEEENST_IJLi27ELi28EEEENST_IJLi29EEEEEEENST_IJLi26ELi27ELi28ELi29EEEElEENSB_INS5_IJSR_SP_SP_SR_SG_SG_S2D_S2F_EEENS5_IJSU_SV_SW_SY_SX_SZ_S11_S10_EEENS5_IJS1P_SX_SY_S1Q_S11_S12_NST_IJLi9ELi10EEEES1D_EEENST_IJLi8ELi9ELi10ELi11EEEElEENS5_IJNSB_INS5_IJSK_SP_SP_NSQ_INS5_IJiS2E_NS2A_IiLi64EEEEEELb0EEES2Y_EEENS5_IJSU_SV_SW_SX_SY_EEENS5_IJS1P_SX_SY_NST_IJLi5ELi6ELi7EEEENST_IJLi8ELi9ELi10EEEEEEENST_IJLi5ELi6ELi7ELi8ELi9ELi10EEEElEEEEES35_NS_31BlockToCTileMap_M00_N00_M01_N01ILi128ELi128ES1Y_Lb0EEENS1_30ComputePtrOffsetOfStridedBatchILi1ELi1ELi1EvEELb1ELb1EEEvPKT0_S3D_T1_PT2_T3_T4_T5_iT6_T7_T8_T9_T10_T11_, .Lfunc_end9-_ZN2ck16tensor_operation6device12_GLOBAL__N_137kernel_grouped_conv_fwd_dl_multiple_dINS_32GridwiseGemmDlMultipleD_km_kn_mnILi256EDF16_fNS_5TupleIJDF16_EEEDF16_NS0_12element_wise11PassThroughES8_NS7_7AddReluELNS_25InMemoryDataOperationEnumE0ENS_16TensorDescriptorINS5_IJNS_5EmbedINS5_IJiiiiiEEESD_Lb0EEENS_11PassThroughIiEENS_3PadIiiiLb0EEESI_SI_SG_SG_NSC_INS5_IJiiEEESJ_Lb0EEESK_SK_SG_NS_23Merge_v2_magic_divisionINS5_IJiiiiEEEEESN_NS_8RightPadIiiLb0EEESP_NS_7UnMergeISJ_Lb0EEESG_EEENS5_IJNS_8SequenceIJLi0EEEENST_IJLi1EEEENST_IJLi2EEEENST_IJLi3EEEENST_IJLi4EEEENST_IJLi5EEEENST_IJLi6EEEENST_IJLi7EEEENST_IJLi8EEEENST_IJLi9EEEENST_IJLi10EEEENST_IJLi11ELi13ELi15ELi17EEEENST_IJLi12ELi14ELi16ELi18EEEENST_IJLi19EEEENST_IJLi20EEEENST_IJLi22EEEENST_IJLi21EEEEEEENS5_IJNST_IJLi1ELi2ELi3ELi4ELi5EEEES10_S11_S12_S13_S14_NST_IJLi11EEEENST_IJLi12ELi13EEEENST_IJLi14ELi15EEEENST_IJLi16ELi17EEEENST_IJLi18EEEES17_S18_S1A_S19_NST_IJLi23ELi24EEEENST_IJLi25EEEEEEENST_IJLi23ELi25ELi24EEEElEENSB_INS5_IJSR_SP_SP_SR_SG_EEENS5_IJSU_SV_SW_SY_SX_EEENS5_IJNST_IJLi1ELi2EEEESX_SY_NST_IJLi5ELi6EEEES11_EEENST_IJLi5ELi7ELi6EEEElEENSB_INS5_IJSK_SP_SP_EEENS5_IJSU_SV_SW_EEENS5_IJS1P_SX_SY_EEENST_IJLi3ELi4EEEElEELi128ELi128ELi16ELi2ELi4ELi4ELi1ENST_IJLi8ELi2EEEES1Z_NST_IJLi8ELi1ELi1ELi2EEEENST_IJLi2ELi1ELi128ELi1EEEENST_IJLi1ELi2ELi0ELi3EEEES22_NST_IJLi4ELi1ELi1ELi2EEEES22_NST_IJLi1ELi1ELi1ELi2EEEES20_S21_S22_S22_S23_S22_S24_NST_IJLi0ELi1ELi2ELi3ELi4ELi5EEEELi5ELi4EEEDF16_NS5_IJPKDF16_EEEDF16_S8_S8_S9_NSB_INS5_IJSE_SG_SI_SI_SI_SG_SG_SK_SK_SK_SG_SN_SN_SP_SP_SR_SG_SG_NSQ_INS5_IJiNS_17integral_constantIiLi128EEEEEELb0EEENSF_INS2A_IiLi2EEEEEEEENS5_IJSU_SV_SW_SX_SY_SZ_S10_S11_S12_S13_S14_S15_S16_S17_S18_S19_S1A_NST_IJLi23EEEES1J_NST_IJLi24EEEEEEENS5_IJS1C_S10_S11_S12_S13_S14_S1D_S1E_S1F_S1G_S1H_S17_S18_S1A_S19_S1I_S1J_NST_IJLi26EEEENST_IJLi27ELi28EEEENST_IJLi29EEEEEEENST_IJLi26ELi27ELi28ELi29EEEElEENSB_INS5_IJSR_SP_SP_SR_SG_SG_S2D_S2F_EEENS5_IJSU_SV_SW_SY_SX_SZ_S11_S10_EEENS5_IJS1P_SX_SY_S1Q_S11_S12_NST_IJLi9ELi10EEEES1D_EEENST_IJLi8ELi9ELi10ELi11EEEElEENS5_IJNSB_INS5_IJSK_SP_SP_NSQ_INS5_IJiS2E_NS2A_IiLi64EEEEEELb0EEES2Y_EEENS5_IJSU_SV_SW_SX_SY_EEENS5_IJS1P_SX_SY_NST_IJLi5ELi6ELi7EEEENST_IJLi8ELi9ELi10EEEEEEENST_IJLi5ELi6ELi7ELi8ELi9ELi10EEEElEEEEES35_NS_31BlockToCTileMap_M00_N00_M01_N01ILi128ELi128ES1Y_Lb0EEENS1_30ComputePtrOffsetOfStridedBatchILi1ELi1ELi1EvEELb1ELb1EEEvPKT0_S3D_T1_PT2_T3_T4_T5_iT6_T7_T8_T9_T10_T11_
                                        ; -- End function
	.set _ZN2ck16tensor_operation6device12_GLOBAL__N_137kernel_grouped_conv_fwd_dl_multiple_dINS_32GridwiseGemmDlMultipleD_km_kn_mnILi256EDF16_fNS_5TupleIJDF16_EEEDF16_NS0_12element_wise11PassThroughES8_NS7_7AddReluELNS_25InMemoryDataOperationEnumE0ENS_16TensorDescriptorINS5_IJNS_5EmbedINS5_IJiiiiiEEESD_Lb0EEENS_11PassThroughIiEENS_3PadIiiiLb0EEESI_SI_SG_SG_NSC_INS5_IJiiEEESJ_Lb0EEESK_SK_SG_NS_23Merge_v2_magic_divisionINS5_IJiiiiEEEEESN_NS_8RightPadIiiLb0EEESP_NS_7UnMergeISJ_Lb0EEESG_EEENS5_IJNS_8SequenceIJLi0EEEENST_IJLi1EEEENST_IJLi2EEEENST_IJLi3EEEENST_IJLi4EEEENST_IJLi5EEEENST_IJLi6EEEENST_IJLi7EEEENST_IJLi8EEEENST_IJLi9EEEENST_IJLi10EEEENST_IJLi11ELi13ELi15ELi17EEEENST_IJLi12ELi14ELi16ELi18EEEENST_IJLi19EEEENST_IJLi20EEEENST_IJLi22EEEENST_IJLi21EEEEEEENS5_IJNST_IJLi1ELi2ELi3ELi4ELi5EEEES10_S11_S12_S13_S14_NST_IJLi11EEEENST_IJLi12ELi13EEEENST_IJLi14ELi15EEEENST_IJLi16ELi17EEEENST_IJLi18EEEES17_S18_S1A_S19_NST_IJLi23ELi24EEEENST_IJLi25EEEEEEENST_IJLi23ELi25ELi24EEEElEENSB_INS5_IJSR_SP_SP_SR_SG_EEENS5_IJSU_SV_SW_SY_SX_EEENS5_IJNST_IJLi1ELi2EEEESX_SY_NST_IJLi5ELi6EEEES11_EEENST_IJLi5ELi7ELi6EEEElEENSB_INS5_IJSK_SP_SP_EEENS5_IJSU_SV_SW_EEENS5_IJS1P_SX_SY_EEENST_IJLi3ELi4EEEElEELi128ELi128ELi16ELi2ELi4ELi4ELi1ENST_IJLi8ELi2EEEES1Z_NST_IJLi8ELi1ELi1ELi2EEEENST_IJLi2ELi1ELi128ELi1EEEENST_IJLi1ELi2ELi0ELi3EEEES22_NST_IJLi4ELi1ELi1ELi2EEEES22_NST_IJLi1ELi1ELi1ELi2EEEES20_S21_S22_S22_S23_S22_S24_NST_IJLi0ELi1ELi2ELi3ELi4ELi5EEEELi5ELi4EEEDF16_NS5_IJPKDF16_EEEDF16_S8_S8_S9_NSB_INS5_IJSE_SG_SI_SI_SI_SG_SG_SK_SK_SK_SG_SN_SN_SP_SP_SR_SG_SG_NSQ_INS5_IJiNS_17integral_constantIiLi128EEEEEELb0EEENSF_INS2A_IiLi2EEEEEEEENS5_IJSU_SV_SW_SX_SY_SZ_S10_S11_S12_S13_S14_S15_S16_S17_S18_S19_S1A_NST_IJLi23EEEES1J_NST_IJLi24EEEEEEENS5_IJS1C_S10_S11_S12_S13_S14_S1D_S1E_S1F_S1G_S1H_S17_S18_S1A_S19_S1I_S1J_NST_IJLi26EEEENST_IJLi27ELi28EEEENST_IJLi29EEEEEEENST_IJLi26ELi27ELi28ELi29EEEElEENSB_INS5_IJSR_SP_SP_SR_SG_SG_S2D_S2F_EEENS5_IJSU_SV_SW_SY_SX_SZ_S11_S10_EEENS5_IJS1P_SX_SY_S1Q_S11_S12_NST_IJLi9ELi10EEEES1D_EEENST_IJLi8ELi9ELi10ELi11EEEElEENS5_IJNSB_INS5_IJSK_SP_SP_NSQ_INS5_IJiS2E_NS2A_IiLi64EEEEEELb0EEES2Y_EEENS5_IJSU_SV_SW_SX_SY_EEENS5_IJS1P_SX_SY_NST_IJLi5ELi6ELi7EEEENST_IJLi8ELi9ELi10EEEEEEENST_IJLi5ELi6ELi7ELi8ELi9ELi10EEEElEEEEES35_NS_31BlockToCTileMap_M00_N00_M01_N01ILi128ELi128ES1Y_Lb0EEENS1_30ComputePtrOffsetOfStridedBatchILi1ELi1ELi1EvEELb1ELb1EEEvPKT0_S3D_T1_PT2_T3_T4_T5_iT6_T7_T8_T9_T10_T11_.num_vgpr, 143
	.set _ZN2ck16tensor_operation6device12_GLOBAL__N_137kernel_grouped_conv_fwd_dl_multiple_dINS_32GridwiseGemmDlMultipleD_km_kn_mnILi256EDF16_fNS_5TupleIJDF16_EEEDF16_NS0_12element_wise11PassThroughES8_NS7_7AddReluELNS_25InMemoryDataOperationEnumE0ENS_16TensorDescriptorINS5_IJNS_5EmbedINS5_IJiiiiiEEESD_Lb0EEENS_11PassThroughIiEENS_3PadIiiiLb0EEESI_SI_SG_SG_NSC_INS5_IJiiEEESJ_Lb0EEESK_SK_SG_NS_23Merge_v2_magic_divisionINS5_IJiiiiEEEEESN_NS_8RightPadIiiLb0EEESP_NS_7UnMergeISJ_Lb0EEESG_EEENS5_IJNS_8SequenceIJLi0EEEENST_IJLi1EEEENST_IJLi2EEEENST_IJLi3EEEENST_IJLi4EEEENST_IJLi5EEEENST_IJLi6EEEENST_IJLi7EEEENST_IJLi8EEEENST_IJLi9EEEENST_IJLi10EEEENST_IJLi11ELi13ELi15ELi17EEEENST_IJLi12ELi14ELi16ELi18EEEENST_IJLi19EEEENST_IJLi20EEEENST_IJLi22EEEENST_IJLi21EEEEEEENS5_IJNST_IJLi1ELi2ELi3ELi4ELi5EEEES10_S11_S12_S13_S14_NST_IJLi11EEEENST_IJLi12ELi13EEEENST_IJLi14ELi15EEEENST_IJLi16ELi17EEEENST_IJLi18EEEES17_S18_S1A_S19_NST_IJLi23ELi24EEEENST_IJLi25EEEEEEENST_IJLi23ELi25ELi24EEEElEENSB_INS5_IJSR_SP_SP_SR_SG_EEENS5_IJSU_SV_SW_SY_SX_EEENS5_IJNST_IJLi1ELi2EEEESX_SY_NST_IJLi5ELi6EEEES11_EEENST_IJLi5ELi7ELi6EEEElEENSB_INS5_IJSK_SP_SP_EEENS5_IJSU_SV_SW_EEENS5_IJS1P_SX_SY_EEENST_IJLi3ELi4EEEElEELi128ELi128ELi16ELi2ELi4ELi4ELi1ENST_IJLi8ELi2EEEES1Z_NST_IJLi8ELi1ELi1ELi2EEEENST_IJLi2ELi1ELi128ELi1EEEENST_IJLi1ELi2ELi0ELi3EEEES22_NST_IJLi4ELi1ELi1ELi2EEEES22_NST_IJLi1ELi1ELi1ELi2EEEES20_S21_S22_S22_S23_S22_S24_NST_IJLi0ELi1ELi2ELi3ELi4ELi5EEEELi5ELi4EEEDF16_NS5_IJPKDF16_EEEDF16_S8_S8_S9_NSB_INS5_IJSE_SG_SI_SI_SI_SG_SG_SK_SK_SK_SG_SN_SN_SP_SP_SR_SG_SG_NSQ_INS5_IJiNS_17integral_constantIiLi128EEEEEELb0EEENSF_INS2A_IiLi2EEEEEEEENS5_IJSU_SV_SW_SX_SY_SZ_S10_S11_S12_S13_S14_S15_S16_S17_S18_S19_S1A_NST_IJLi23EEEES1J_NST_IJLi24EEEEEEENS5_IJS1C_S10_S11_S12_S13_S14_S1D_S1E_S1F_S1G_S1H_S17_S18_S1A_S19_S1I_S1J_NST_IJLi26EEEENST_IJLi27ELi28EEEENST_IJLi29EEEEEEENST_IJLi26ELi27ELi28ELi29EEEElEENSB_INS5_IJSR_SP_SP_SR_SG_SG_S2D_S2F_EEENS5_IJSU_SV_SW_SY_SX_SZ_S11_S10_EEENS5_IJS1P_SX_SY_S1Q_S11_S12_NST_IJLi9ELi10EEEES1D_EEENST_IJLi8ELi9ELi10ELi11EEEElEENS5_IJNSB_INS5_IJSK_SP_SP_NSQ_INS5_IJiS2E_NS2A_IiLi64EEEEEELb0EEES2Y_EEENS5_IJSU_SV_SW_SX_SY_EEENS5_IJS1P_SX_SY_NST_IJLi5ELi6ELi7EEEENST_IJLi8ELi9ELi10EEEEEEENST_IJLi5ELi6ELi7ELi8ELi9ELi10EEEElEEEEES35_NS_31BlockToCTileMap_M00_N00_M01_N01ILi128ELi128ES1Y_Lb0EEENS1_30ComputePtrOffsetOfStridedBatchILi1ELi1ELi1EvEELb1ELb1EEEvPKT0_S3D_T1_PT2_T3_T4_T5_iT6_T7_T8_T9_T10_T11_.num_agpr, 0
	.set _ZN2ck16tensor_operation6device12_GLOBAL__N_137kernel_grouped_conv_fwd_dl_multiple_dINS_32GridwiseGemmDlMultipleD_km_kn_mnILi256EDF16_fNS_5TupleIJDF16_EEEDF16_NS0_12element_wise11PassThroughES8_NS7_7AddReluELNS_25InMemoryDataOperationEnumE0ENS_16TensorDescriptorINS5_IJNS_5EmbedINS5_IJiiiiiEEESD_Lb0EEENS_11PassThroughIiEENS_3PadIiiiLb0EEESI_SI_SG_SG_NSC_INS5_IJiiEEESJ_Lb0EEESK_SK_SG_NS_23Merge_v2_magic_divisionINS5_IJiiiiEEEEESN_NS_8RightPadIiiLb0EEESP_NS_7UnMergeISJ_Lb0EEESG_EEENS5_IJNS_8SequenceIJLi0EEEENST_IJLi1EEEENST_IJLi2EEEENST_IJLi3EEEENST_IJLi4EEEENST_IJLi5EEEENST_IJLi6EEEENST_IJLi7EEEENST_IJLi8EEEENST_IJLi9EEEENST_IJLi10EEEENST_IJLi11ELi13ELi15ELi17EEEENST_IJLi12ELi14ELi16ELi18EEEENST_IJLi19EEEENST_IJLi20EEEENST_IJLi22EEEENST_IJLi21EEEEEEENS5_IJNST_IJLi1ELi2ELi3ELi4ELi5EEEES10_S11_S12_S13_S14_NST_IJLi11EEEENST_IJLi12ELi13EEEENST_IJLi14ELi15EEEENST_IJLi16ELi17EEEENST_IJLi18EEEES17_S18_S1A_S19_NST_IJLi23ELi24EEEENST_IJLi25EEEEEEENST_IJLi23ELi25ELi24EEEElEENSB_INS5_IJSR_SP_SP_SR_SG_EEENS5_IJSU_SV_SW_SY_SX_EEENS5_IJNST_IJLi1ELi2EEEESX_SY_NST_IJLi5ELi6EEEES11_EEENST_IJLi5ELi7ELi6EEEElEENSB_INS5_IJSK_SP_SP_EEENS5_IJSU_SV_SW_EEENS5_IJS1P_SX_SY_EEENST_IJLi3ELi4EEEElEELi128ELi128ELi16ELi2ELi4ELi4ELi1ENST_IJLi8ELi2EEEES1Z_NST_IJLi8ELi1ELi1ELi2EEEENST_IJLi2ELi1ELi128ELi1EEEENST_IJLi1ELi2ELi0ELi3EEEES22_NST_IJLi4ELi1ELi1ELi2EEEES22_NST_IJLi1ELi1ELi1ELi2EEEES20_S21_S22_S22_S23_S22_S24_NST_IJLi0ELi1ELi2ELi3ELi4ELi5EEEELi5ELi4EEEDF16_NS5_IJPKDF16_EEEDF16_S8_S8_S9_NSB_INS5_IJSE_SG_SI_SI_SI_SG_SG_SK_SK_SK_SG_SN_SN_SP_SP_SR_SG_SG_NSQ_INS5_IJiNS_17integral_constantIiLi128EEEEEELb0EEENSF_INS2A_IiLi2EEEEEEEENS5_IJSU_SV_SW_SX_SY_SZ_S10_S11_S12_S13_S14_S15_S16_S17_S18_S19_S1A_NST_IJLi23EEEES1J_NST_IJLi24EEEEEEENS5_IJS1C_S10_S11_S12_S13_S14_S1D_S1E_S1F_S1G_S1H_S17_S18_S1A_S19_S1I_S1J_NST_IJLi26EEEENST_IJLi27ELi28EEEENST_IJLi29EEEEEEENST_IJLi26ELi27ELi28ELi29EEEElEENSB_INS5_IJSR_SP_SP_SR_SG_SG_S2D_S2F_EEENS5_IJSU_SV_SW_SY_SX_SZ_S11_S10_EEENS5_IJS1P_SX_SY_S1Q_S11_S12_NST_IJLi9ELi10EEEES1D_EEENST_IJLi8ELi9ELi10ELi11EEEElEENS5_IJNSB_INS5_IJSK_SP_SP_NSQ_INS5_IJiS2E_NS2A_IiLi64EEEEEELb0EEES2Y_EEENS5_IJSU_SV_SW_SX_SY_EEENS5_IJS1P_SX_SY_NST_IJLi5ELi6ELi7EEEENST_IJLi8ELi9ELi10EEEEEEENST_IJLi5ELi6ELi7ELi8ELi9ELi10EEEElEEEEES35_NS_31BlockToCTileMap_M00_N00_M01_N01ILi128ELi128ES1Y_Lb0EEENS1_30ComputePtrOffsetOfStridedBatchILi1ELi1ELi1EvEELb1ELb1EEEvPKT0_S3D_T1_PT2_T3_T4_T5_iT6_T7_T8_T9_T10_T11_.numbered_sgpr, 79
	.set _ZN2ck16tensor_operation6device12_GLOBAL__N_137kernel_grouped_conv_fwd_dl_multiple_dINS_32GridwiseGemmDlMultipleD_km_kn_mnILi256EDF16_fNS_5TupleIJDF16_EEEDF16_NS0_12element_wise11PassThroughES8_NS7_7AddReluELNS_25InMemoryDataOperationEnumE0ENS_16TensorDescriptorINS5_IJNS_5EmbedINS5_IJiiiiiEEESD_Lb0EEENS_11PassThroughIiEENS_3PadIiiiLb0EEESI_SI_SG_SG_NSC_INS5_IJiiEEESJ_Lb0EEESK_SK_SG_NS_23Merge_v2_magic_divisionINS5_IJiiiiEEEEESN_NS_8RightPadIiiLb0EEESP_NS_7UnMergeISJ_Lb0EEESG_EEENS5_IJNS_8SequenceIJLi0EEEENST_IJLi1EEEENST_IJLi2EEEENST_IJLi3EEEENST_IJLi4EEEENST_IJLi5EEEENST_IJLi6EEEENST_IJLi7EEEENST_IJLi8EEEENST_IJLi9EEEENST_IJLi10EEEENST_IJLi11ELi13ELi15ELi17EEEENST_IJLi12ELi14ELi16ELi18EEEENST_IJLi19EEEENST_IJLi20EEEENST_IJLi22EEEENST_IJLi21EEEEEEENS5_IJNST_IJLi1ELi2ELi3ELi4ELi5EEEES10_S11_S12_S13_S14_NST_IJLi11EEEENST_IJLi12ELi13EEEENST_IJLi14ELi15EEEENST_IJLi16ELi17EEEENST_IJLi18EEEES17_S18_S1A_S19_NST_IJLi23ELi24EEEENST_IJLi25EEEEEEENST_IJLi23ELi25ELi24EEEElEENSB_INS5_IJSR_SP_SP_SR_SG_EEENS5_IJSU_SV_SW_SY_SX_EEENS5_IJNST_IJLi1ELi2EEEESX_SY_NST_IJLi5ELi6EEEES11_EEENST_IJLi5ELi7ELi6EEEElEENSB_INS5_IJSK_SP_SP_EEENS5_IJSU_SV_SW_EEENS5_IJS1P_SX_SY_EEENST_IJLi3ELi4EEEElEELi128ELi128ELi16ELi2ELi4ELi4ELi1ENST_IJLi8ELi2EEEES1Z_NST_IJLi8ELi1ELi1ELi2EEEENST_IJLi2ELi1ELi128ELi1EEEENST_IJLi1ELi2ELi0ELi3EEEES22_NST_IJLi4ELi1ELi1ELi2EEEES22_NST_IJLi1ELi1ELi1ELi2EEEES20_S21_S22_S22_S23_S22_S24_NST_IJLi0ELi1ELi2ELi3ELi4ELi5EEEELi5ELi4EEEDF16_NS5_IJPKDF16_EEEDF16_S8_S8_S9_NSB_INS5_IJSE_SG_SI_SI_SI_SG_SG_SK_SK_SK_SG_SN_SN_SP_SP_SR_SG_SG_NSQ_INS5_IJiNS_17integral_constantIiLi128EEEEEELb0EEENSF_INS2A_IiLi2EEEEEEEENS5_IJSU_SV_SW_SX_SY_SZ_S10_S11_S12_S13_S14_S15_S16_S17_S18_S19_S1A_NST_IJLi23EEEES1J_NST_IJLi24EEEEEEENS5_IJS1C_S10_S11_S12_S13_S14_S1D_S1E_S1F_S1G_S1H_S17_S18_S1A_S19_S1I_S1J_NST_IJLi26EEEENST_IJLi27ELi28EEEENST_IJLi29EEEEEEENST_IJLi26ELi27ELi28ELi29EEEElEENSB_INS5_IJSR_SP_SP_SR_SG_SG_S2D_S2F_EEENS5_IJSU_SV_SW_SY_SX_SZ_S11_S10_EEENS5_IJS1P_SX_SY_S1Q_S11_S12_NST_IJLi9ELi10EEEES1D_EEENST_IJLi8ELi9ELi10ELi11EEEElEENS5_IJNSB_INS5_IJSK_SP_SP_NSQ_INS5_IJiS2E_NS2A_IiLi64EEEEEELb0EEES2Y_EEENS5_IJSU_SV_SW_SX_SY_EEENS5_IJS1P_SX_SY_NST_IJLi5ELi6ELi7EEEENST_IJLi8ELi9ELi10EEEEEEENST_IJLi5ELi6ELi7ELi8ELi9ELi10EEEElEEEEES35_NS_31BlockToCTileMap_M00_N00_M01_N01ILi128ELi128ES1Y_Lb0EEENS1_30ComputePtrOffsetOfStridedBatchILi1ELi1ELi1EvEELb1ELb1EEEvPKT0_S3D_T1_PT2_T3_T4_T5_iT6_T7_T8_T9_T10_T11_.num_named_barrier, 0
	.set _ZN2ck16tensor_operation6device12_GLOBAL__N_137kernel_grouped_conv_fwd_dl_multiple_dINS_32GridwiseGemmDlMultipleD_km_kn_mnILi256EDF16_fNS_5TupleIJDF16_EEEDF16_NS0_12element_wise11PassThroughES8_NS7_7AddReluELNS_25InMemoryDataOperationEnumE0ENS_16TensorDescriptorINS5_IJNS_5EmbedINS5_IJiiiiiEEESD_Lb0EEENS_11PassThroughIiEENS_3PadIiiiLb0EEESI_SI_SG_SG_NSC_INS5_IJiiEEESJ_Lb0EEESK_SK_SG_NS_23Merge_v2_magic_divisionINS5_IJiiiiEEEEESN_NS_8RightPadIiiLb0EEESP_NS_7UnMergeISJ_Lb0EEESG_EEENS5_IJNS_8SequenceIJLi0EEEENST_IJLi1EEEENST_IJLi2EEEENST_IJLi3EEEENST_IJLi4EEEENST_IJLi5EEEENST_IJLi6EEEENST_IJLi7EEEENST_IJLi8EEEENST_IJLi9EEEENST_IJLi10EEEENST_IJLi11ELi13ELi15ELi17EEEENST_IJLi12ELi14ELi16ELi18EEEENST_IJLi19EEEENST_IJLi20EEEENST_IJLi22EEEENST_IJLi21EEEEEEENS5_IJNST_IJLi1ELi2ELi3ELi4ELi5EEEES10_S11_S12_S13_S14_NST_IJLi11EEEENST_IJLi12ELi13EEEENST_IJLi14ELi15EEEENST_IJLi16ELi17EEEENST_IJLi18EEEES17_S18_S1A_S19_NST_IJLi23ELi24EEEENST_IJLi25EEEEEEENST_IJLi23ELi25ELi24EEEElEENSB_INS5_IJSR_SP_SP_SR_SG_EEENS5_IJSU_SV_SW_SY_SX_EEENS5_IJNST_IJLi1ELi2EEEESX_SY_NST_IJLi5ELi6EEEES11_EEENST_IJLi5ELi7ELi6EEEElEENSB_INS5_IJSK_SP_SP_EEENS5_IJSU_SV_SW_EEENS5_IJS1P_SX_SY_EEENST_IJLi3ELi4EEEElEELi128ELi128ELi16ELi2ELi4ELi4ELi1ENST_IJLi8ELi2EEEES1Z_NST_IJLi8ELi1ELi1ELi2EEEENST_IJLi2ELi1ELi128ELi1EEEENST_IJLi1ELi2ELi0ELi3EEEES22_NST_IJLi4ELi1ELi1ELi2EEEES22_NST_IJLi1ELi1ELi1ELi2EEEES20_S21_S22_S22_S23_S22_S24_NST_IJLi0ELi1ELi2ELi3ELi4ELi5EEEELi5ELi4EEEDF16_NS5_IJPKDF16_EEEDF16_S8_S8_S9_NSB_INS5_IJSE_SG_SI_SI_SI_SG_SG_SK_SK_SK_SG_SN_SN_SP_SP_SR_SG_SG_NSQ_INS5_IJiNS_17integral_constantIiLi128EEEEEELb0EEENSF_INS2A_IiLi2EEEEEEEENS5_IJSU_SV_SW_SX_SY_SZ_S10_S11_S12_S13_S14_S15_S16_S17_S18_S19_S1A_NST_IJLi23EEEES1J_NST_IJLi24EEEEEEENS5_IJS1C_S10_S11_S12_S13_S14_S1D_S1E_S1F_S1G_S1H_S17_S18_S1A_S19_S1I_S1J_NST_IJLi26EEEENST_IJLi27ELi28EEEENST_IJLi29EEEEEEENST_IJLi26ELi27ELi28ELi29EEEElEENSB_INS5_IJSR_SP_SP_SR_SG_SG_S2D_S2F_EEENS5_IJSU_SV_SW_SY_SX_SZ_S11_S10_EEENS5_IJS1P_SX_SY_S1Q_S11_S12_NST_IJLi9ELi10EEEES1D_EEENST_IJLi8ELi9ELi10ELi11EEEElEENS5_IJNSB_INS5_IJSK_SP_SP_NSQ_INS5_IJiS2E_NS2A_IiLi64EEEEEELb0EEES2Y_EEENS5_IJSU_SV_SW_SX_SY_EEENS5_IJS1P_SX_SY_NST_IJLi5ELi6ELi7EEEENST_IJLi8ELi9ELi10EEEEEEENST_IJLi5ELi6ELi7ELi8ELi9ELi10EEEElEEEEES35_NS_31BlockToCTileMap_M00_N00_M01_N01ILi128ELi128ES1Y_Lb0EEENS1_30ComputePtrOffsetOfStridedBatchILi1ELi1ELi1EvEELb1ELb1EEEvPKT0_S3D_T1_PT2_T3_T4_T5_iT6_T7_T8_T9_T10_T11_.private_seg_size, 0
	.set _ZN2ck16tensor_operation6device12_GLOBAL__N_137kernel_grouped_conv_fwd_dl_multiple_dINS_32GridwiseGemmDlMultipleD_km_kn_mnILi256EDF16_fNS_5TupleIJDF16_EEEDF16_NS0_12element_wise11PassThroughES8_NS7_7AddReluELNS_25InMemoryDataOperationEnumE0ENS_16TensorDescriptorINS5_IJNS_5EmbedINS5_IJiiiiiEEESD_Lb0EEENS_11PassThroughIiEENS_3PadIiiiLb0EEESI_SI_SG_SG_NSC_INS5_IJiiEEESJ_Lb0EEESK_SK_SG_NS_23Merge_v2_magic_divisionINS5_IJiiiiEEEEESN_NS_8RightPadIiiLb0EEESP_NS_7UnMergeISJ_Lb0EEESG_EEENS5_IJNS_8SequenceIJLi0EEEENST_IJLi1EEEENST_IJLi2EEEENST_IJLi3EEEENST_IJLi4EEEENST_IJLi5EEEENST_IJLi6EEEENST_IJLi7EEEENST_IJLi8EEEENST_IJLi9EEEENST_IJLi10EEEENST_IJLi11ELi13ELi15ELi17EEEENST_IJLi12ELi14ELi16ELi18EEEENST_IJLi19EEEENST_IJLi20EEEENST_IJLi22EEEENST_IJLi21EEEEEEENS5_IJNST_IJLi1ELi2ELi3ELi4ELi5EEEES10_S11_S12_S13_S14_NST_IJLi11EEEENST_IJLi12ELi13EEEENST_IJLi14ELi15EEEENST_IJLi16ELi17EEEENST_IJLi18EEEES17_S18_S1A_S19_NST_IJLi23ELi24EEEENST_IJLi25EEEEEEENST_IJLi23ELi25ELi24EEEElEENSB_INS5_IJSR_SP_SP_SR_SG_EEENS5_IJSU_SV_SW_SY_SX_EEENS5_IJNST_IJLi1ELi2EEEESX_SY_NST_IJLi5ELi6EEEES11_EEENST_IJLi5ELi7ELi6EEEElEENSB_INS5_IJSK_SP_SP_EEENS5_IJSU_SV_SW_EEENS5_IJS1P_SX_SY_EEENST_IJLi3ELi4EEEElEELi128ELi128ELi16ELi2ELi4ELi4ELi1ENST_IJLi8ELi2EEEES1Z_NST_IJLi8ELi1ELi1ELi2EEEENST_IJLi2ELi1ELi128ELi1EEEENST_IJLi1ELi2ELi0ELi3EEEES22_NST_IJLi4ELi1ELi1ELi2EEEES22_NST_IJLi1ELi1ELi1ELi2EEEES20_S21_S22_S22_S23_S22_S24_NST_IJLi0ELi1ELi2ELi3ELi4ELi5EEEELi5ELi4EEEDF16_NS5_IJPKDF16_EEEDF16_S8_S8_S9_NSB_INS5_IJSE_SG_SI_SI_SI_SG_SG_SK_SK_SK_SG_SN_SN_SP_SP_SR_SG_SG_NSQ_INS5_IJiNS_17integral_constantIiLi128EEEEEELb0EEENSF_INS2A_IiLi2EEEEEEEENS5_IJSU_SV_SW_SX_SY_SZ_S10_S11_S12_S13_S14_S15_S16_S17_S18_S19_S1A_NST_IJLi23EEEES1J_NST_IJLi24EEEEEEENS5_IJS1C_S10_S11_S12_S13_S14_S1D_S1E_S1F_S1G_S1H_S17_S18_S1A_S19_S1I_S1J_NST_IJLi26EEEENST_IJLi27ELi28EEEENST_IJLi29EEEEEEENST_IJLi26ELi27ELi28ELi29EEEElEENSB_INS5_IJSR_SP_SP_SR_SG_SG_S2D_S2F_EEENS5_IJSU_SV_SW_SY_SX_SZ_S11_S10_EEENS5_IJS1P_SX_SY_S1Q_S11_S12_NST_IJLi9ELi10EEEES1D_EEENST_IJLi8ELi9ELi10ELi11EEEElEENS5_IJNSB_INS5_IJSK_SP_SP_NSQ_INS5_IJiS2E_NS2A_IiLi64EEEEEELb0EEES2Y_EEENS5_IJSU_SV_SW_SX_SY_EEENS5_IJS1P_SX_SY_NST_IJLi5ELi6ELi7EEEENST_IJLi8ELi9ELi10EEEEEEENST_IJLi5ELi6ELi7ELi8ELi9ELi10EEEElEEEEES35_NS_31BlockToCTileMap_M00_N00_M01_N01ILi128ELi128ES1Y_Lb0EEENS1_30ComputePtrOffsetOfStridedBatchILi1ELi1ELi1EvEELb1ELb1EEEvPKT0_S3D_T1_PT2_T3_T4_T5_iT6_T7_T8_T9_T10_T11_.uses_vcc, 1
	.set _ZN2ck16tensor_operation6device12_GLOBAL__N_137kernel_grouped_conv_fwd_dl_multiple_dINS_32GridwiseGemmDlMultipleD_km_kn_mnILi256EDF16_fNS_5TupleIJDF16_EEEDF16_NS0_12element_wise11PassThroughES8_NS7_7AddReluELNS_25InMemoryDataOperationEnumE0ENS_16TensorDescriptorINS5_IJNS_5EmbedINS5_IJiiiiiEEESD_Lb0EEENS_11PassThroughIiEENS_3PadIiiiLb0EEESI_SI_SG_SG_NSC_INS5_IJiiEEESJ_Lb0EEESK_SK_SG_NS_23Merge_v2_magic_divisionINS5_IJiiiiEEEEESN_NS_8RightPadIiiLb0EEESP_NS_7UnMergeISJ_Lb0EEESG_EEENS5_IJNS_8SequenceIJLi0EEEENST_IJLi1EEEENST_IJLi2EEEENST_IJLi3EEEENST_IJLi4EEEENST_IJLi5EEEENST_IJLi6EEEENST_IJLi7EEEENST_IJLi8EEEENST_IJLi9EEEENST_IJLi10EEEENST_IJLi11ELi13ELi15ELi17EEEENST_IJLi12ELi14ELi16ELi18EEEENST_IJLi19EEEENST_IJLi20EEEENST_IJLi22EEEENST_IJLi21EEEEEEENS5_IJNST_IJLi1ELi2ELi3ELi4ELi5EEEES10_S11_S12_S13_S14_NST_IJLi11EEEENST_IJLi12ELi13EEEENST_IJLi14ELi15EEEENST_IJLi16ELi17EEEENST_IJLi18EEEES17_S18_S1A_S19_NST_IJLi23ELi24EEEENST_IJLi25EEEEEEENST_IJLi23ELi25ELi24EEEElEENSB_INS5_IJSR_SP_SP_SR_SG_EEENS5_IJSU_SV_SW_SY_SX_EEENS5_IJNST_IJLi1ELi2EEEESX_SY_NST_IJLi5ELi6EEEES11_EEENST_IJLi5ELi7ELi6EEEElEENSB_INS5_IJSK_SP_SP_EEENS5_IJSU_SV_SW_EEENS5_IJS1P_SX_SY_EEENST_IJLi3ELi4EEEElEELi128ELi128ELi16ELi2ELi4ELi4ELi1ENST_IJLi8ELi2EEEES1Z_NST_IJLi8ELi1ELi1ELi2EEEENST_IJLi2ELi1ELi128ELi1EEEENST_IJLi1ELi2ELi0ELi3EEEES22_NST_IJLi4ELi1ELi1ELi2EEEES22_NST_IJLi1ELi1ELi1ELi2EEEES20_S21_S22_S22_S23_S22_S24_NST_IJLi0ELi1ELi2ELi3ELi4ELi5EEEELi5ELi4EEEDF16_NS5_IJPKDF16_EEEDF16_S8_S8_S9_NSB_INS5_IJSE_SG_SI_SI_SI_SG_SG_SK_SK_SK_SG_SN_SN_SP_SP_SR_SG_SG_NSQ_INS5_IJiNS_17integral_constantIiLi128EEEEEELb0EEENSF_INS2A_IiLi2EEEEEEEENS5_IJSU_SV_SW_SX_SY_SZ_S10_S11_S12_S13_S14_S15_S16_S17_S18_S19_S1A_NST_IJLi23EEEES1J_NST_IJLi24EEEEEEENS5_IJS1C_S10_S11_S12_S13_S14_S1D_S1E_S1F_S1G_S1H_S17_S18_S1A_S19_S1I_S1J_NST_IJLi26EEEENST_IJLi27ELi28EEEENST_IJLi29EEEEEEENST_IJLi26ELi27ELi28ELi29EEEElEENSB_INS5_IJSR_SP_SP_SR_SG_SG_S2D_S2F_EEENS5_IJSU_SV_SW_SY_SX_SZ_S11_S10_EEENS5_IJS1P_SX_SY_S1Q_S11_S12_NST_IJLi9ELi10EEEES1D_EEENST_IJLi8ELi9ELi10ELi11EEEElEENS5_IJNSB_INS5_IJSK_SP_SP_NSQ_INS5_IJiS2E_NS2A_IiLi64EEEEEELb0EEES2Y_EEENS5_IJSU_SV_SW_SX_SY_EEENS5_IJS1P_SX_SY_NST_IJLi5ELi6ELi7EEEENST_IJLi8ELi9ELi10EEEEEEENST_IJLi5ELi6ELi7ELi8ELi9ELi10EEEElEEEEES35_NS_31BlockToCTileMap_M00_N00_M01_N01ILi128ELi128ES1Y_Lb0EEENS1_30ComputePtrOffsetOfStridedBatchILi1ELi1ELi1EvEELb1ELb1EEEvPKT0_S3D_T1_PT2_T3_T4_T5_iT6_T7_T8_T9_T10_T11_.uses_flat_scratch, 0
	.set _ZN2ck16tensor_operation6device12_GLOBAL__N_137kernel_grouped_conv_fwd_dl_multiple_dINS_32GridwiseGemmDlMultipleD_km_kn_mnILi256EDF16_fNS_5TupleIJDF16_EEEDF16_NS0_12element_wise11PassThroughES8_NS7_7AddReluELNS_25InMemoryDataOperationEnumE0ENS_16TensorDescriptorINS5_IJNS_5EmbedINS5_IJiiiiiEEESD_Lb0EEENS_11PassThroughIiEENS_3PadIiiiLb0EEESI_SI_SG_SG_NSC_INS5_IJiiEEESJ_Lb0EEESK_SK_SG_NS_23Merge_v2_magic_divisionINS5_IJiiiiEEEEESN_NS_8RightPadIiiLb0EEESP_NS_7UnMergeISJ_Lb0EEESG_EEENS5_IJNS_8SequenceIJLi0EEEENST_IJLi1EEEENST_IJLi2EEEENST_IJLi3EEEENST_IJLi4EEEENST_IJLi5EEEENST_IJLi6EEEENST_IJLi7EEEENST_IJLi8EEEENST_IJLi9EEEENST_IJLi10EEEENST_IJLi11ELi13ELi15ELi17EEEENST_IJLi12ELi14ELi16ELi18EEEENST_IJLi19EEEENST_IJLi20EEEENST_IJLi22EEEENST_IJLi21EEEEEEENS5_IJNST_IJLi1ELi2ELi3ELi4ELi5EEEES10_S11_S12_S13_S14_NST_IJLi11EEEENST_IJLi12ELi13EEEENST_IJLi14ELi15EEEENST_IJLi16ELi17EEEENST_IJLi18EEEES17_S18_S1A_S19_NST_IJLi23ELi24EEEENST_IJLi25EEEEEEENST_IJLi23ELi25ELi24EEEElEENSB_INS5_IJSR_SP_SP_SR_SG_EEENS5_IJSU_SV_SW_SY_SX_EEENS5_IJNST_IJLi1ELi2EEEESX_SY_NST_IJLi5ELi6EEEES11_EEENST_IJLi5ELi7ELi6EEEElEENSB_INS5_IJSK_SP_SP_EEENS5_IJSU_SV_SW_EEENS5_IJS1P_SX_SY_EEENST_IJLi3ELi4EEEElEELi128ELi128ELi16ELi2ELi4ELi4ELi1ENST_IJLi8ELi2EEEES1Z_NST_IJLi8ELi1ELi1ELi2EEEENST_IJLi2ELi1ELi128ELi1EEEENST_IJLi1ELi2ELi0ELi3EEEES22_NST_IJLi4ELi1ELi1ELi2EEEES22_NST_IJLi1ELi1ELi1ELi2EEEES20_S21_S22_S22_S23_S22_S24_NST_IJLi0ELi1ELi2ELi3ELi4ELi5EEEELi5ELi4EEEDF16_NS5_IJPKDF16_EEEDF16_S8_S8_S9_NSB_INS5_IJSE_SG_SI_SI_SI_SG_SG_SK_SK_SK_SG_SN_SN_SP_SP_SR_SG_SG_NSQ_INS5_IJiNS_17integral_constantIiLi128EEEEEELb0EEENSF_INS2A_IiLi2EEEEEEEENS5_IJSU_SV_SW_SX_SY_SZ_S10_S11_S12_S13_S14_S15_S16_S17_S18_S19_S1A_NST_IJLi23EEEES1J_NST_IJLi24EEEEEEENS5_IJS1C_S10_S11_S12_S13_S14_S1D_S1E_S1F_S1G_S1H_S17_S18_S1A_S19_S1I_S1J_NST_IJLi26EEEENST_IJLi27ELi28EEEENST_IJLi29EEEEEEENST_IJLi26ELi27ELi28ELi29EEEElEENSB_INS5_IJSR_SP_SP_SR_SG_SG_S2D_S2F_EEENS5_IJSU_SV_SW_SY_SX_SZ_S11_S10_EEENS5_IJS1P_SX_SY_S1Q_S11_S12_NST_IJLi9ELi10EEEES1D_EEENST_IJLi8ELi9ELi10ELi11EEEElEENS5_IJNSB_INS5_IJSK_SP_SP_NSQ_INS5_IJiS2E_NS2A_IiLi64EEEEEELb0EEES2Y_EEENS5_IJSU_SV_SW_SX_SY_EEENS5_IJS1P_SX_SY_NST_IJLi5ELi6ELi7EEEENST_IJLi8ELi9ELi10EEEEEEENST_IJLi5ELi6ELi7ELi8ELi9ELi10EEEElEEEEES35_NS_31BlockToCTileMap_M00_N00_M01_N01ILi128ELi128ES1Y_Lb0EEENS1_30ComputePtrOffsetOfStridedBatchILi1ELi1ELi1EvEELb1ELb1EEEvPKT0_S3D_T1_PT2_T3_T4_T5_iT6_T7_T8_T9_T10_T11_.has_dyn_sized_stack, 0
	.set _ZN2ck16tensor_operation6device12_GLOBAL__N_137kernel_grouped_conv_fwd_dl_multiple_dINS_32GridwiseGemmDlMultipleD_km_kn_mnILi256EDF16_fNS_5TupleIJDF16_EEEDF16_NS0_12element_wise11PassThroughES8_NS7_7AddReluELNS_25InMemoryDataOperationEnumE0ENS_16TensorDescriptorINS5_IJNS_5EmbedINS5_IJiiiiiEEESD_Lb0EEENS_11PassThroughIiEENS_3PadIiiiLb0EEESI_SI_SG_SG_NSC_INS5_IJiiEEESJ_Lb0EEESK_SK_SG_NS_23Merge_v2_magic_divisionINS5_IJiiiiEEEEESN_NS_8RightPadIiiLb0EEESP_NS_7UnMergeISJ_Lb0EEESG_EEENS5_IJNS_8SequenceIJLi0EEEENST_IJLi1EEEENST_IJLi2EEEENST_IJLi3EEEENST_IJLi4EEEENST_IJLi5EEEENST_IJLi6EEEENST_IJLi7EEEENST_IJLi8EEEENST_IJLi9EEEENST_IJLi10EEEENST_IJLi11ELi13ELi15ELi17EEEENST_IJLi12ELi14ELi16ELi18EEEENST_IJLi19EEEENST_IJLi20EEEENST_IJLi22EEEENST_IJLi21EEEEEEENS5_IJNST_IJLi1ELi2ELi3ELi4ELi5EEEES10_S11_S12_S13_S14_NST_IJLi11EEEENST_IJLi12ELi13EEEENST_IJLi14ELi15EEEENST_IJLi16ELi17EEEENST_IJLi18EEEES17_S18_S1A_S19_NST_IJLi23ELi24EEEENST_IJLi25EEEEEEENST_IJLi23ELi25ELi24EEEElEENSB_INS5_IJSR_SP_SP_SR_SG_EEENS5_IJSU_SV_SW_SY_SX_EEENS5_IJNST_IJLi1ELi2EEEESX_SY_NST_IJLi5ELi6EEEES11_EEENST_IJLi5ELi7ELi6EEEElEENSB_INS5_IJSK_SP_SP_EEENS5_IJSU_SV_SW_EEENS5_IJS1P_SX_SY_EEENST_IJLi3ELi4EEEElEELi128ELi128ELi16ELi2ELi4ELi4ELi1ENST_IJLi8ELi2EEEES1Z_NST_IJLi8ELi1ELi1ELi2EEEENST_IJLi2ELi1ELi128ELi1EEEENST_IJLi1ELi2ELi0ELi3EEEES22_NST_IJLi4ELi1ELi1ELi2EEEES22_NST_IJLi1ELi1ELi1ELi2EEEES20_S21_S22_S22_S23_S22_S24_NST_IJLi0ELi1ELi2ELi3ELi4ELi5EEEELi5ELi4EEEDF16_NS5_IJPKDF16_EEEDF16_S8_S8_S9_NSB_INS5_IJSE_SG_SI_SI_SI_SG_SG_SK_SK_SK_SG_SN_SN_SP_SP_SR_SG_SG_NSQ_INS5_IJiNS_17integral_constantIiLi128EEEEEELb0EEENSF_INS2A_IiLi2EEEEEEEENS5_IJSU_SV_SW_SX_SY_SZ_S10_S11_S12_S13_S14_S15_S16_S17_S18_S19_S1A_NST_IJLi23EEEES1J_NST_IJLi24EEEEEEENS5_IJS1C_S10_S11_S12_S13_S14_S1D_S1E_S1F_S1G_S1H_S17_S18_S1A_S19_S1I_S1J_NST_IJLi26EEEENST_IJLi27ELi28EEEENST_IJLi29EEEEEEENST_IJLi26ELi27ELi28ELi29EEEElEENSB_INS5_IJSR_SP_SP_SR_SG_SG_S2D_S2F_EEENS5_IJSU_SV_SW_SY_SX_SZ_S11_S10_EEENS5_IJS1P_SX_SY_S1Q_S11_S12_NST_IJLi9ELi10EEEES1D_EEENST_IJLi8ELi9ELi10ELi11EEEElEENS5_IJNSB_INS5_IJSK_SP_SP_NSQ_INS5_IJiS2E_NS2A_IiLi64EEEEEELb0EEES2Y_EEENS5_IJSU_SV_SW_SX_SY_EEENS5_IJS1P_SX_SY_NST_IJLi5ELi6ELi7EEEENST_IJLi8ELi9ELi10EEEEEEENST_IJLi5ELi6ELi7ELi8ELi9ELi10EEEElEEEEES35_NS_31BlockToCTileMap_M00_N00_M01_N01ILi128ELi128ES1Y_Lb0EEENS1_30ComputePtrOffsetOfStridedBatchILi1ELi1ELi1EvEELb1ELb1EEEvPKT0_S3D_T1_PT2_T3_T4_T5_iT6_T7_T8_T9_T10_T11_.has_recursion, 0
	.set _ZN2ck16tensor_operation6device12_GLOBAL__N_137kernel_grouped_conv_fwd_dl_multiple_dINS_32GridwiseGemmDlMultipleD_km_kn_mnILi256EDF16_fNS_5TupleIJDF16_EEEDF16_NS0_12element_wise11PassThroughES8_NS7_7AddReluELNS_25InMemoryDataOperationEnumE0ENS_16TensorDescriptorINS5_IJNS_5EmbedINS5_IJiiiiiEEESD_Lb0EEENS_11PassThroughIiEENS_3PadIiiiLb0EEESI_SI_SG_SG_NSC_INS5_IJiiEEESJ_Lb0EEESK_SK_SG_NS_23Merge_v2_magic_divisionINS5_IJiiiiEEEEESN_NS_8RightPadIiiLb0EEESP_NS_7UnMergeISJ_Lb0EEESG_EEENS5_IJNS_8SequenceIJLi0EEEENST_IJLi1EEEENST_IJLi2EEEENST_IJLi3EEEENST_IJLi4EEEENST_IJLi5EEEENST_IJLi6EEEENST_IJLi7EEEENST_IJLi8EEEENST_IJLi9EEEENST_IJLi10EEEENST_IJLi11ELi13ELi15ELi17EEEENST_IJLi12ELi14ELi16ELi18EEEENST_IJLi19EEEENST_IJLi20EEEENST_IJLi22EEEENST_IJLi21EEEEEEENS5_IJNST_IJLi1ELi2ELi3ELi4ELi5EEEES10_S11_S12_S13_S14_NST_IJLi11EEEENST_IJLi12ELi13EEEENST_IJLi14ELi15EEEENST_IJLi16ELi17EEEENST_IJLi18EEEES17_S18_S1A_S19_NST_IJLi23ELi24EEEENST_IJLi25EEEEEEENST_IJLi23ELi25ELi24EEEElEENSB_INS5_IJSR_SP_SP_SR_SG_EEENS5_IJSU_SV_SW_SY_SX_EEENS5_IJNST_IJLi1ELi2EEEESX_SY_NST_IJLi5ELi6EEEES11_EEENST_IJLi5ELi7ELi6EEEElEENSB_INS5_IJSK_SP_SP_EEENS5_IJSU_SV_SW_EEENS5_IJS1P_SX_SY_EEENST_IJLi3ELi4EEEElEELi128ELi128ELi16ELi2ELi4ELi4ELi1ENST_IJLi8ELi2EEEES1Z_NST_IJLi8ELi1ELi1ELi2EEEENST_IJLi2ELi1ELi128ELi1EEEENST_IJLi1ELi2ELi0ELi3EEEES22_NST_IJLi4ELi1ELi1ELi2EEEES22_NST_IJLi1ELi1ELi1ELi2EEEES20_S21_S22_S22_S23_S22_S24_NST_IJLi0ELi1ELi2ELi3ELi4ELi5EEEELi5ELi4EEEDF16_NS5_IJPKDF16_EEEDF16_S8_S8_S9_NSB_INS5_IJSE_SG_SI_SI_SI_SG_SG_SK_SK_SK_SG_SN_SN_SP_SP_SR_SG_SG_NSQ_INS5_IJiNS_17integral_constantIiLi128EEEEEELb0EEENSF_INS2A_IiLi2EEEEEEEENS5_IJSU_SV_SW_SX_SY_SZ_S10_S11_S12_S13_S14_S15_S16_S17_S18_S19_S1A_NST_IJLi23EEEES1J_NST_IJLi24EEEEEEENS5_IJS1C_S10_S11_S12_S13_S14_S1D_S1E_S1F_S1G_S1H_S17_S18_S1A_S19_S1I_S1J_NST_IJLi26EEEENST_IJLi27ELi28EEEENST_IJLi29EEEEEEENST_IJLi26ELi27ELi28ELi29EEEElEENSB_INS5_IJSR_SP_SP_SR_SG_SG_S2D_S2F_EEENS5_IJSU_SV_SW_SY_SX_SZ_S11_S10_EEENS5_IJS1P_SX_SY_S1Q_S11_S12_NST_IJLi9ELi10EEEES1D_EEENST_IJLi8ELi9ELi10ELi11EEEElEENS5_IJNSB_INS5_IJSK_SP_SP_NSQ_INS5_IJiS2E_NS2A_IiLi64EEEEEELb0EEES2Y_EEENS5_IJSU_SV_SW_SX_SY_EEENS5_IJS1P_SX_SY_NST_IJLi5ELi6ELi7EEEENST_IJLi8ELi9ELi10EEEEEEENST_IJLi5ELi6ELi7ELi8ELi9ELi10EEEElEEEEES35_NS_31BlockToCTileMap_M00_N00_M01_N01ILi128ELi128ES1Y_Lb0EEENS1_30ComputePtrOffsetOfStridedBatchILi1ELi1ELi1EvEELb1ELb1EEEvPKT0_S3D_T1_PT2_T3_T4_T5_iT6_T7_T8_T9_T10_T11_.has_indirect_call, 0
	.section	.AMDGPU.csdata,"",@progbits
; Kernel info:
; codeLenInByte = 27120
; TotalNumSgprs: 81
; NumVgprs: 143
; ScratchSize: 0
; MemoryBound: 0
; FloatMode: 240
; IeeeMode: 1
; LDSByteSize: 32768 bytes/workgroup (compile time only)
; SGPRBlocks: 0
; VGPRBlocks: 17
; NumSGPRsForWavesPerEU: 81
; NumVGPRsForWavesPerEU: 143
; Occupancy: 7
; WaveLimiterHint : 0
; COMPUTE_PGM_RSRC2:SCRATCH_EN: 0
; COMPUTE_PGM_RSRC2:USER_SGPR: 6
; COMPUTE_PGM_RSRC2:TRAP_HANDLER: 0
; COMPUTE_PGM_RSRC2:TGID_X_EN: 1
; COMPUTE_PGM_RSRC2:TGID_Y_EN: 0
; COMPUTE_PGM_RSRC2:TGID_Z_EN: 0
; COMPUTE_PGM_RSRC2:TIDIG_COMP_CNT: 0
	.section	.text._ZN2ck16tensor_operation6device12_GLOBAL__N_137kernel_grouped_conv_fwd_dl_multiple_dINS_32GridwiseGemmDlMultipleD_km_kn_mnILi256EDF16_fNS_5TupleIJDF16_EEEDF16_NS0_12element_wise11PassThroughES8_NS7_7AddReluELNS_25InMemoryDataOperationEnumE0ENS_16TensorDescriptorINS5_IJNS_5EmbedINS5_IJiiiiiEEESD_Lb0EEENS_11PassThroughIiEENS_3PadIiiiLb0EEESI_SI_SG_SG_NSC_INS5_IJiiEEESJ_Lb0EEESK_SK_SG_NS_23Merge_v2_magic_divisionINS5_IJiiiiEEEEESN_NS_8RightPadIiiLb0EEESP_NS_7UnMergeISJ_Lb0EEESG_EEENS5_IJNS_8SequenceIJLi0EEEENST_IJLi1EEEENST_IJLi2EEEENST_IJLi3EEEENST_IJLi4EEEENST_IJLi5EEEENST_IJLi6EEEENST_IJLi7EEEENST_IJLi8EEEENST_IJLi9EEEENST_IJLi10EEEENST_IJLi11ELi13ELi15ELi17EEEENST_IJLi12ELi14ELi16ELi18EEEENST_IJLi19EEEENST_IJLi20EEEENST_IJLi22EEEENST_IJLi21EEEEEEENS5_IJNST_IJLi1ELi2ELi3ELi4ELi5EEEES10_S11_S12_S13_S14_NST_IJLi11EEEENST_IJLi12ELi13EEEENST_IJLi14ELi15EEEENST_IJLi16ELi17EEEENST_IJLi18EEEES17_S18_S1A_S19_NST_IJLi23ELi24EEEENST_IJLi25EEEEEEENST_IJLi23ELi25ELi24EEEElEENSB_INS5_IJSR_SP_SP_SR_SG_EEENS5_IJSU_SV_SW_SY_SX_EEENS5_IJNST_IJLi1ELi2EEEESX_SY_NST_IJLi5ELi6EEEES11_EEENST_IJLi5ELi7ELi6EEEElEENSB_INS5_IJSK_SP_SP_EEENS5_IJSU_SV_SW_EEENS5_IJS1P_SX_SY_EEENST_IJLi3ELi4EEEElEELi128ELi128ELi16ELi2ELi4ELi4ELi1ENST_IJLi8ELi2EEEES1Z_NST_IJLi8ELi1ELi1ELi2EEEENST_IJLi2ELi1ELi128ELi1EEEENST_IJLi1ELi2ELi0ELi3EEEES22_NST_IJLi4ELi1ELi1ELi2EEEES22_NST_IJLi1ELi1ELi1ELi2EEEES20_S21_S22_S22_S23_S22_S24_NST_IJLi0ELi1ELi2ELi3ELi4ELi5EEEELi5ELi4EEEDF16_NS5_IJPKDF16_EEEDF16_S8_S8_S9_NSB_INS5_IJSE_SG_SI_SI_SI_SG_SG_SK_SK_SK_SG_SN_SN_SP_SP_SR_SG_SG_NSQ_INS5_IJiNS_17integral_constantIiLi128EEEEEELb0EEENSF_INS2A_IiLi2EEEEEEEENS5_IJSU_SV_SW_SX_SY_SZ_S10_S11_S12_S13_S14_S15_S16_S17_S18_S19_S1A_NST_IJLi23EEEES1J_NST_IJLi24EEEEEEENS5_IJS1C_S10_S11_S12_S13_S14_S1D_S1E_S1F_S1G_S1H_S17_S18_S1A_S19_S1I_S1J_NST_IJLi26EEEENST_IJLi27ELi28EEEENST_IJLi29EEEEEEENST_IJLi26ELi27ELi28ELi29EEEElEENSB_INS5_IJSR_SP_SP_SR_SG_SG_S2D_S2F_EEENS5_IJSU_SV_SW_SY_SX_SZ_S11_S10_EEENS5_IJS1P_SX_SY_S1Q_S11_S12_NST_IJLi9ELi10EEEES1D_EEENST_IJLi8ELi9ELi10ELi11EEEElEENS5_IJNSB_INS5_IJSK_SP_SP_NSQ_INS5_IJiS2E_NS2A_IiLi64EEEEEELb0EEES2Y_EEENS5_IJSU_SV_SW_SX_SY_EEENS5_IJS1P_SX_SY_NST_IJLi5ELi6ELi7EEEENST_IJLi8ELi9ELi10EEEEEEENST_IJLi5ELi6ELi7ELi8ELi9ELi10EEEElEEEEES35_NS_31BlockToCTileMap_M00_N00_M01_N01ILi128ELi128ES1Y_Lb0EEENS1_30ComputePtrOffsetOfStridedBatchILi1ELi1ELi1EvEELb1ELb0EEEvPKT0_S3D_T1_PT2_T3_T4_T5_iT6_T7_T8_T9_T10_T11_,"axG",@progbits,_ZN2ck16tensor_operation6device12_GLOBAL__N_137kernel_grouped_conv_fwd_dl_multiple_dINS_32GridwiseGemmDlMultipleD_km_kn_mnILi256EDF16_fNS_5TupleIJDF16_EEEDF16_NS0_12element_wise11PassThroughES8_NS7_7AddReluELNS_25InMemoryDataOperationEnumE0ENS_16TensorDescriptorINS5_IJNS_5EmbedINS5_IJiiiiiEEESD_Lb0EEENS_11PassThroughIiEENS_3PadIiiiLb0EEESI_SI_SG_SG_NSC_INS5_IJiiEEESJ_Lb0EEESK_SK_SG_NS_23Merge_v2_magic_divisionINS5_IJiiiiEEEEESN_NS_8RightPadIiiLb0EEESP_NS_7UnMergeISJ_Lb0EEESG_EEENS5_IJNS_8SequenceIJLi0EEEENST_IJLi1EEEENST_IJLi2EEEENST_IJLi3EEEENST_IJLi4EEEENST_IJLi5EEEENST_IJLi6EEEENST_IJLi7EEEENST_IJLi8EEEENST_IJLi9EEEENST_IJLi10EEEENST_IJLi11ELi13ELi15ELi17EEEENST_IJLi12ELi14ELi16ELi18EEEENST_IJLi19EEEENST_IJLi20EEEENST_IJLi22EEEENST_IJLi21EEEEEEENS5_IJNST_IJLi1ELi2ELi3ELi4ELi5EEEES10_S11_S12_S13_S14_NST_IJLi11EEEENST_IJLi12ELi13EEEENST_IJLi14ELi15EEEENST_IJLi16ELi17EEEENST_IJLi18EEEES17_S18_S1A_S19_NST_IJLi23ELi24EEEENST_IJLi25EEEEEEENST_IJLi23ELi25ELi24EEEElEENSB_INS5_IJSR_SP_SP_SR_SG_EEENS5_IJSU_SV_SW_SY_SX_EEENS5_IJNST_IJLi1ELi2EEEESX_SY_NST_IJLi5ELi6EEEES11_EEENST_IJLi5ELi7ELi6EEEElEENSB_INS5_IJSK_SP_SP_EEENS5_IJSU_SV_SW_EEENS5_IJS1P_SX_SY_EEENST_IJLi3ELi4EEEElEELi128ELi128ELi16ELi2ELi4ELi4ELi1ENST_IJLi8ELi2EEEES1Z_NST_IJLi8ELi1ELi1ELi2EEEENST_IJLi2ELi1ELi128ELi1EEEENST_IJLi1ELi2ELi0ELi3EEEES22_NST_IJLi4ELi1ELi1ELi2EEEES22_NST_IJLi1ELi1ELi1ELi2EEEES20_S21_S22_S22_S23_S22_S24_NST_IJLi0ELi1ELi2ELi3ELi4ELi5EEEELi5ELi4EEEDF16_NS5_IJPKDF16_EEEDF16_S8_S8_S9_NSB_INS5_IJSE_SG_SI_SI_SI_SG_SG_SK_SK_SK_SG_SN_SN_SP_SP_SR_SG_SG_NSQ_INS5_IJiNS_17integral_constantIiLi128EEEEEELb0EEENSF_INS2A_IiLi2EEEEEEEENS5_IJSU_SV_SW_SX_SY_SZ_S10_S11_S12_S13_S14_S15_S16_S17_S18_S19_S1A_NST_IJLi23EEEES1J_NST_IJLi24EEEEEEENS5_IJS1C_S10_S11_S12_S13_S14_S1D_S1E_S1F_S1G_S1H_S17_S18_S1A_S19_S1I_S1J_NST_IJLi26EEEENST_IJLi27ELi28EEEENST_IJLi29EEEEEEENST_IJLi26ELi27ELi28ELi29EEEElEENSB_INS5_IJSR_SP_SP_SR_SG_SG_S2D_S2F_EEENS5_IJSU_SV_SW_SY_SX_SZ_S11_S10_EEENS5_IJS1P_SX_SY_S1Q_S11_S12_NST_IJLi9ELi10EEEES1D_EEENST_IJLi8ELi9ELi10ELi11EEEElEENS5_IJNSB_INS5_IJSK_SP_SP_NSQ_INS5_IJiS2E_NS2A_IiLi64EEEEEELb0EEES2Y_EEENS5_IJSU_SV_SW_SX_SY_EEENS5_IJS1P_SX_SY_NST_IJLi5ELi6ELi7EEEENST_IJLi8ELi9ELi10EEEEEEENST_IJLi5ELi6ELi7ELi8ELi9ELi10EEEElEEEEES35_NS_31BlockToCTileMap_M00_N00_M01_N01ILi128ELi128ES1Y_Lb0EEENS1_30ComputePtrOffsetOfStridedBatchILi1ELi1ELi1EvEELb1ELb0EEEvPKT0_S3D_T1_PT2_T3_T4_T5_iT6_T7_T8_T9_T10_T11_,comdat
	.globl	_ZN2ck16tensor_operation6device12_GLOBAL__N_137kernel_grouped_conv_fwd_dl_multiple_dINS_32GridwiseGemmDlMultipleD_km_kn_mnILi256EDF16_fNS_5TupleIJDF16_EEEDF16_NS0_12element_wise11PassThroughES8_NS7_7AddReluELNS_25InMemoryDataOperationEnumE0ENS_16TensorDescriptorINS5_IJNS_5EmbedINS5_IJiiiiiEEESD_Lb0EEENS_11PassThroughIiEENS_3PadIiiiLb0EEESI_SI_SG_SG_NSC_INS5_IJiiEEESJ_Lb0EEESK_SK_SG_NS_23Merge_v2_magic_divisionINS5_IJiiiiEEEEESN_NS_8RightPadIiiLb0EEESP_NS_7UnMergeISJ_Lb0EEESG_EEENS5_IJNS_8SequenceIJLi0EEEENST_IJLi1EEEENST_IJLi2EEEENST_IJLi3EEEENST_IJLi4EEEENST_IJLi5EEEENST_IJLi6EEEENST_IJLi7EEEENST_IJLi8EEEENST_IJLi9EEEENST_IJLi10EEEENST_IJLi11ELi13ELi15ELi17EEEENST_IJLi12ELi14ELi16ELi18EEEENST_IJLi19EEEENST_IJLi20EEEENST_IJLi22EEEENST_IJLi21EEEEEEENS5_IJNST_IJLi1ELi2ELi3ELi4ELi5EEEES10_S11_S12_S13_S14_NST_IJLi11EEEENST_IJLi12ELi13EEEENST_IJLi14ELi15EEEENST_IJLi16ELi17EEEENST_IJLi18EEEES17_S18_S1A_S19_NST_IJLi23ELi24EEEENST_IJLi25EEEEEEENST_IJLi23ELi25ELi24EEEElEENSB_INS5_IJSR_SP_SP_SR_SG_EEENS5_IJSU_SV_SW_SY_SX_EEENS5_IJNST_IJLi1ELi2EEEESX_SY_NST_IJLi5ELi6EEEES11_EEENST_IJLi5ELi7ELi6EEEElEENSB_INS5_IJSK_SP_SP_EEENS5_IJSU_SV_SW_EEENS5_IJS1P_SX_SY_EEENST_IJLi3ELi4EEEElEELi128ELi128ELi16ELi2ELi4ELi4ELi1ENST_IJLi8ELi2EEEES1Z_NST_IJLi8ELi1ELi1ELi2EEEENST_IJLi2ELi1ELi128ELi1EEEENST_IJLi1ELi2ELi0ELi3EEEES22_NST_IJLi4ELi1ELi1ELi2EEEES22_NST_IJLi1ELi1ELi1ELi2EEEES20_S21_S22_S22_S23_S22_S24_NST_IJLi0ELi1ELi2ELi3ELi4ELi5EEEELi5ELi4EEEDF16_NS5_IJPKDF16_EEEDF16_S8_S8_S9_NSB_INS5_IJSE_SG_SI_SI_SI_SG_SG_SK_SK_SK_SG_SN_SN_SP_SP_SR_SG_SG_NSQ_INS5_IJiNS_17integral_constantIiLi128EEEEEELb0EEENSF_INS2A_IiLi2EEEEEEEENS5_IJSU_SV_SW_SX_SY_SZ_S10_S11_S12_S13_S14_S15_S16_S17_S18_S19_S1A_NST_IJLi23EEEES1J_NST_IJLi24EEEEEEENS5_IJS1C_S10_S11_S12_S13_S14_S1D_S1E_S1F_S1G_S1H_S17_S18_S1A_S19_S1I_S1J_NST_IJLi26EEEENST_IJLi27ELi28EEEENST_IJLi29EEEEEEENST_IJLi26ELi27ELi28ELi29EEEElEENSB_INS5_IJSR_SP_SP_SR_SG_SG_S2D_S2F_EEENS5_IJSU_SV_SW_SY_SX_SZ_S11_S10_EEENS5_IJS1P_SX_SY_S1Q_S11_S12_NST_IJLi9ELi10EEEES1D_EEENST_IJLi8ELi9ELi10ELi11EEEElEENS5_IJNSB_INS5_IJSK_SP_SP_NSQ_INS5_IJiS2E_NS2A_IiLi64EEEEEELb0EEES2Y_EEENS5_IJSU_SV_SW_SX_SY_EEENS5_IJS1P_SX_SY_NST_IJLi5ELi6ELi7EEEENST_IJLi8ELi9ELi10EEEEEEENST_IJLi5ELi6ELi7ELi8ELi9ELi10EEEElEEEEES35_NS_31BlockToCTileMap_M00_N00_M01_N01ILi128ELi128ES1Y_Lb0EEENS1_30ComputePtrOffsetOfStridedBatchILi1ELi1ELi1EvEELb1ELb0EEEvPKT0_S3D_T1_PT2_T3_T4_T5_iT6_T7_T8_T9_T10_T11_ ; -- Begin function _ZN2ck16tensor_operation6device12_GLOBAL__N_137kernel_grouped_conv_fwd_dl_multiple_dINS_32GridwiseGemmDlMultipleD_km_kn_mnILi256EDF16_fNS_5TupleIJDF16_EEEDF16_NS0_12element_wise11PassThroughES8_NS7_7AddReluELNS_25InMemoryDataOperationEnumE0ENS_16TensorDescriptorINS5_IJNS_5EmbedINS5_IJiiiiiEEESD_Lb0EEENS_11PassThroughIiEENS_3PadIiiiLb0EEESI_SI_SG_SG_NSC_INS5_IJiiEEESJ_Lb0EEESK_SK_SG_NS_23Merge_v2_magic_divisionINS5_IJiiiiEEEEESN_NS_8RightPadIiiLb0EEESP_NS_7UnMergeISJ_Lb0EEESG_EEENS5_IJNS_8SequenceIJLi0EEEENST_IJLi1EEEENST_IJLi2EEEENST_IJLi3EEEENST_IJLi4EEEENST_IJLi5EEEENST_IJLi6EEEENST_IJLi7EEEENST_IJLi8EEEENST_IJLi9EEEENST_IJLi10EEEENST_IJLi11ELi13ELi15ELi17EEEENST_IJLi12ELi14ELi16ELi18EEEENST_IJLi19EEEENST_IJLi20EEEENST_IJLi22EEEENST_IJLi21EEEEEEENS5_IJNST_IJLi1ELi2ELi3ELi4ELi5EEEES10_S11_S12_S13_S14_NST_IJLi11EEEENST_IJLi12ELi13EEEENST_IJLi14ELi15EEEENST_IJLi16ELi17EEEENST_IJLi18EEEES17_S18_S1A_S19_NST_IJLi23ELi24EEEENST_IJLi25EEEEEEENST_IJLi23ELi25ELi24EEEElEENSB_INS5_IJSR_SP_SP_SR_SG_EEENS5_IJSU_SV_SW_SY_SX_EEENS5_IJNST_IJLi1ELi2EEEESX_SY_NST_IJLi5ELi6EEEES11_EEENST_IJLi5ELi7ELi6EEEElEENSB_INS5_IJSK_SP_SP_EEENS5_IJSU_SV_SW_EEENS5_IJS1P_SX_SY_EEENST_IJLi3ELi4EEEElEELi128ELi128ELi16ELi2ELi4ELi4ELi1ENST_IJLi8ELi2EEEES1Z_NST_IJLi8ELi1ELi1ELi2EEEENST_IJLi2ELi1ELi128ELi1EEEENST_IJLi1ELi2ELi0ELi3EEEES22_NST_IJLi4ELi1ELi1ELi2EEEES22_NST_IJLi1ELi1ELi1ELi2EEEES20_S21_S22_S22_S23_S22_S24_NST_IJLi0ELi1ELi2ELi3ELi4ELi5EEEELi5ELi4EEEDF16_NS5_IJPKDF16_EEEDF16_S8_S8_S9_NSB_INS5_IJSE_SG_SI_SI_SI_SG_SG_SK_SK_SK_SG_SN_SN_SP_SP_SR_SG_SG_NSQ_INS5_IJiNS_17integral_constantIiLi128EEEEEELb0EEENSF_INS2A_IiLi2EEEEEEEENS5_IJSU_SV_SW_SX_SY_SZ_S10_S11_S12_S13_S14_S15_S16_S17_S18_S19_S1A_NST_IJLi23EEEES1J_NST_IJLi24EEEEEEENS5_IJS1C_S10_S11_S12_S13_S14_S1D_S1E_S1F_S1G_S1H_S17_S18_S1A_S19_S1I_S1J_NST_IJLi26EEEENST_IJLi27ELi28EEEENST_IJLi29EEEEEEENST_IJLi26ELi27ELi28ELi29EEEElEENSB_INS5_IJSR_SP_SP_SR_SG_SG_S2D_S2F_EEENS5_IJSU_SV_SW_SY_SX_SZ_S11_S10_EEENS5_IJS1P_SX_SY_S1Q_S11_S12_NST_IJLi9ELi10EEEES1D_EEENST_IJLi8ELi9ELi10ELi11EEEElEENS5_IJNSB_INS5_IJSK_SP_SP_NSQ_INS5_IJiS2E_NS2A_IiLi64EEEEEELb0EEES2Y_EEENS5_IJSU_SV_SW_SX_SY_EEENS5_IJS1P_SX_SY_NST_IJLi5ELi6ELi7EEEENST_IJLi8ELi9ELi10EEEEEEENST_IJLi5ELi6ELi7ELi8ELi9ELi10EEEElEEEEES35_NS_31BlockToCTileMap_M00_N00_M01_N01ILi128ELi128ES1Y_Lb0EEENS1_30ComputePtrOffsetOfStridedBatchILi1ELi1ELi1EvEELb1ELb0EEEvPKT0_S3D_T1_PT2_T3_T4_T5_iT6_T7_T8_T9_T10_T11_
	.p2align	8
	.type	_ZN2ck16tensor_operation6device12_GLOBAL__N_137kernel_grouped_conv_fwd_dl_multiple_dINS_32GridwiseGemmDlMultipleD_km_kn_mnILi256EDF16_fNS_5TupleIJDF16_EEEDF16_NS0_12element_wise11PassThroughES8_NS7_7AddReluELNS_25InMemoryDataOperationEnumE0ENS_16TensorDescriptorINS5_IJNS_5EmbedINS5_IJiiiiiEEESD_Lb0EEENS_11PassThroughIiEENS_3PadIiiiLb0EEESI_SI_SG_SG_NSC_INS5_IJiiEEESJ_Lb0EEESK_SK_SG_NS_23Merge_v2_magic_divisionINS5_IJiiiiEEEEESN_NS_8RightPadIiiLb0EEESP_NS_7UnMergeISJ_Lb0EEESG_EEENS5_IJNS_8SequenceIJLi0EEEENST_IJLi1EEEENST_IJLi2EEEENST_IJLi3EEEENST_IJLi4EEEENST_IJLi5EEEENST_IJLi6EEEENST_IJLi7EEEENST_IJLi8EEEENST_IJLi9EEEENST_IJLi10EEEENST_IJLi11ELi13ELi15ELi17EEEENST_IJLi12ELi14ELi16ELi18EEEENST_IJLi19EEEENST_IJLi20EEEENST_IJLi22EEEENST_IJLi21EEEEEEENS5_IJNST_IJLi1ELi2ELi3ELi4ELi5EEEES10_S11_S12_S13_S14_NST_IJLi11EEEENST_IJLi12ELi13EEEENST_IJLi14ELi15EEEENST_IJLi16ELi17EEEENST_IJLi18EEEES17_S18_S1A_S19_NST_IJLi23ELi24EEEENST_IJLi25EEEEEEENST_IJLi23ELi25ELi24EEEElEENSB_INS5_IJSR_SP_SP_SR_SG_EEENS5_IJSU_SV_SW_SY_SX_EEENS5_IJNST_IJLi1ELi2EEEESX_SY_NST_IJLi5ELi6EEEES11_EEENST_IJLi5ELi7ELi6EEEElEENSB_INS5_IJSK_SP_SP_EEENS5_IJSU_SV_SW_EEENS5_IJS1P_SX_SY_EEENST_IJLi3ELi4EEEElEELi128ELi128ELi16ELi2ELi4ELi4ELi1ENST_IJLi8ELi2EEEES1Z_NST_IJLi8ELi1ELi1ELi2EEEENST_IJLi2ELi1ELi128ELi1EEEENST_IJLi1ELi2ELi0ELi3EEEES22_NST_IJLi4ELi1ELi1ELi2EEEES22_NST_IJLi1ELi1ELi1ELi2EEEES20_S21_S22_S22_S23_S22_S24_NST_IJLi0ELi1ELi2ELi3ELi4ELi5EEEELi5ELi4EEEDF16_NS5_IJPKDF16_EEEDF16_S8_S8_S9_NSB_INS5_IJSE_SG_SI_SI_SI_SG_SG_SK_SK_SK_SG_SN_SN_SP_SP_SR_SG_SG_NSQ_INS5_IJiNS_17integral_constantIiLi128EEEEEELb0EEENSF_INS2A_IiLi2EEEEEEEENS5_IJSU_SV_SW_SX_SY_SZ_S10_S11_S12_S13_S14_S15_S16_S17_S18_S19_S1A_NST_IJLi23EEEES1J_NST_IJLi24EEEEEEENS5_IJS1C_S10_S11_S12_S13_S14_S1D_S1E_S1F_S1G_S1H_S17_S18_S1A_S19_S1I_S1J_NST_IJLi26EEEENST_IJLi27ELi28EEEENST_IJLi29EEEEEEENST_IJLi26ELi27ELi28ELi29EEEElEENSB_INS5_IJSR_SP_SP_SR_SG_SG_S2D_S2F_EEENS5_IJSU_SV_SW_SY_SX_SZ_S11_S10_EEENS5_IJS1P_SX_SY_S1Q_S11_S12_NST_IJLi9ELi10EEEES1D_EEENST_IJLi8ELi9ELi10ELi11EEEElEENS5_IJNSB_INS5_IJSK_SP_SP_NSQ_INS5_IJiS2E_NS2A_IiLi64EEEEEELb0EEES2Y_EEENS5_IJSU_SV_SW_SX_SY_EEENS5_IJS1P_SX_SY_NST_IJLi5ELi6ELi7EEEENST_IJLi8ELi9ELi10EEEEEEENST_IJLi5ELi6ELi7ELi8ELi9ELi10EEEElEEEEES35_NS_31BlockToCTileMap_M00_N00_M01_N01ILi128ELi128ES1Y_Lb0EEENS1_30ComputePtrOffsetOfStridedBatchILi1ELi1ELi1EvEELb1ELb0EEEvPKT0_S3D_T1_PT2_T3_T4_T5_iT6_T7_T8_T9_T10_T11_,@function
_ZN2ck16tensor_operation6device12_GLOBAL__N_137kernel_grouped_conv_fwd_dl_multiple_dINS_32GridwiseGemmDlMultipleD_km_kn_mnILi256EDF16_fNS_5TupleIJDF16_EEEDF16_NS0_12element_wise11PassThroughES8_NS7_7AddReluELNS_25InMemoryDataOperationEnumE0ENS_16TensorDescriptorINS5_IJNS_5EmbedINS5_IJiiiiiEEESD_Lb0EEENS_11PassThroughIiEENS_3PadIiiiLb0EEESI_SI_SG_SG_NSC_INS5_IJiiEEESJ_Lb0EEESK_SK_SG_NS_23Merge_v2_magic_divisionINS5_IJiiiiEEEEESN_NS_8RightPadIiiLb0EEESP_NS_7UnMergeISJ_Lb0EEESG_EEENS5_IJNS_8SequenceIJLi0EEEENST_IJLi1EEEENST_IJLi2EEEENST_IJLi3EEEENST_IJLi4EEEENST_IJLi5EEEENST_IJLi6EEEENST_IJLi7EEEENST_IJLi8EEEENST_IJLi9EEEENST_IJLi10EEEENST_IJLi11ELi13ELi15ELi17EEEENST_IJLi12ELi14ELi16ELi18EEEENST_IJLi19EEEENST_IJLi20EEEENST_IJLi22EEEENST_IJLi21EEEEEEENS5_IJNST_IJLi1ELi2ELi3ELi4ELi5EEEES10_S11_S12_S13_S14_NST_IJLi11EEEENST_IJLi12ELi13EEEENST_IJLi14ELi15EEEENST_IJLi16ELi17EEEENST_IJLi18EEEES17_S18_S1A_S19_NST_IJLi23ELi24EEEENST_IJLi25EEEEEEENST_IJLi23ELi25ELi24EEEElEENSB_INS5_IJSR_SP_SP_SR_SG_EEENS5_IJSU_SV_SW_SY_SX_EEENS5_IJNST_IJLi1ELi2EEEESX_SY_NST_IJLi5ELi6EEEES11_EEENST_IJLi5ELi7ELi6EEEElEENSB_INS5_IJSK_SP_SP_EEENS5_IJSU_SV_SW_EEENS5_IJS1P_SX_SY_EEENST_IJLi3ELi4EEEElEELi128ELi128ELi16ELi2ELi4ELi4ELi1ENST_IJLi8ELi2EEEES1Z_NST_IJLi8ELi1ELi1ELi2EEEENST_IJLi2ELi1ELi128ELi1EEEENST_IJLi1ELi2ELi0ELi3EEEES22_NST_IJLi4ELi1ELi1ELi2EEEES22_NST_IJLi1ELi1ELi1ELi2EEEES20_S21_S22_S22_S23_S22_S24_NST_IJLi0ELi1ELi2ELi3ELi4ELi5EEEELi5ELi4EEEDF16_NS5_IJPKDF16_EEEDF16_S8_S8_S9_NSB_INS5_IJSE_SG_SI_SI_SI_SG_SG_SK_SK_SK_SG_SN_SN_SP_SP_SR_SG_SG_NSQ_INS5_IJiNS_17integral_constantIiLi128EEEEEELb0EEENSF_INS2A_IiLi2EEEEEEEENS5_IJSU_SV_SW_SX_SY_SZ_S10_S11_S12_S13_S14_S15_S16_S17_S18_S19_S1A_NST_IJLi23EEEES1J_NST_IJLi24EEEEEEENS5_IJS1C_S10_S11_S12_S13_S14_S1D_S1E_S1F_S1G_S1H_S17_S18_S1A_S19_S1I_S1J_NST_IJLi26EEEENST_IJLi27ELi28EEEENST_IJLi29EEEEEEENST_IJLi26ELi27ELi28ELi29EEEElEENSB_INS5_IJSR_SP_SP_SR_SG_SG_S2D_S2F_EEENS5_IJSU_SV_SW_SY_SX_SZ_S11_S10_EEENS5_IJS1P_SX_SY_S1Q_S11_S12_NST_IJLi9ELi10EEEES1D_EEENST_IJLi8ELi9ELi10ELi11EEEElEENS5_IJNSB_INS5_IJSK_SP_SP_NSQ_INS5_IJiS2E_NS2A_IiLi64EEEEEELb0EEES2Y_EEENS5_IJSU_SV_SW_SX_SY_EEENS5_IJS1P_SX_SY_NST_IJLi5ELi6ELi7EEEENST_IJLi8ELi9ELi10EEEEEEENST_IJLi5ELi6ELi7ELi8ELi9ELi10EEEElEEEEES35_NS_31BlockToCTileMap_M00_N00_M01_N01ILi128ELi128ES1Y_Lb0EEENS1_30ComputePtrOffsetOfStridedBatchILi1ELi1ELi1EvEELb1ELb0EEEvPKT0_S3D_T1_PT2_T3_T4_T5_iT6_T7_T8_T9_T10_T11_: ; @_ZN2ck16tensor_operation6device12_GLOBAL__N_137kernel_grouped_conv_fwd_dl_multiple_dINS_32GridwiseGemmDlMultipleD_km_kn_mnILi256EDF16_fNS_5TupleIJDF16_EEEDF16_NS0_12element_wise11PassThroughES8_NS7_7AddReluELNS_25InMemoryDataOperationEnumE0ENS_16TensorDescriptorINS5_IJNS_5EmbedINS5_IJiiiiiEEESD_Lb0EEENS_11PassThroughIiEENS_3PadIiiiLb0EEESI_SI_SG_SG_NSC_INS5_IJiiEEESJ_Lb0EEESK_SK_SG_NS_23Merge_v2_magic_divisionINS5_IJiiiiEEEEESN_NS_8RightPadIiiLb0EEESP_NS_7UnMergeISJ_Lb0EEESG_EEENS5_IJNS_8SequenceIJLi0EEEENST_IJLi1EEEENST_IJLi2EEEENST_IJLi3EEEENST_IJLi4EEEENST_IJLi5EEEENST_IJLi6EEEENST_IJLi7EEEENST_IJLi8EEEENST_IJLi9EEEENST_IJLi10EEEENST_IJLi11ELi13ELi15ELi17EEEENST_IJLi12ELi14ELi16ELi18EEEENST_IJLi19EEEENST_IJLi20EEEENST_IJLi22EEEENST_IJLi21EEEEEEENS5_IJNST_IJLi1ELi2ELi3ELi4ELi5EEEES10_S11_S12_S13_S14_NST_IJLi11EEEENST_IJLi12ELi13EEEENST_IJLi14ELi15EEEENST_IJLi16ELi17EEEENST_IJLi18EEEES17_S18_S1A_S19_NST_IJLi23ELi24EEEENST_IJLi25EEEEEEENST_IJLi23ELi25ELi24EEEElEENSB_INS5_IJSR_SP_SP_SR_SG_EEENS5_IJSU_SV_SW_SY_SX_EEENS5_IJNST_IJLi1ELi2EEEESX_SY_NST_IJLi5ELi6EEEES11_EEENST_IJLi5ELi7ELi6EEEElEENSB_INS5_IJSK_SP_SP_EEENS5_IJSU_SV_SW_EEENS5_IJS1P_SX_SY_EEENST_IJLi3ELi4EEEElEELi128ELi128ELi16ELi2ELi4ELi4ELi1ENST_IJLi8ELi2EEEES1Z_NST_IJLi8ELi1ELi1ELi2EEEENST_IJLi2ELi1ELi128ELi1EEEENST_IJLi1ELi2ELi0ELi3EEEES22_NST_IJLi4ELi1ELi1ELi2EEEES22_NST_IJLi1ELi1ELi1ELi2EEEES20_S21_S22_S22_S23_S22_S24_NST_IJLi0ELi1ELi2ELi3ELi4ELi5EEEELi5ELi4EEEDF16_NS5_IJPKDF16_EEEDF16_S8_S8_S9_NSB_INS5_IJSE_SG_SI_SI_SI_SG_SG_SK_SK_SK_SG_SN_SN_SP_SP_SR_SG_SG_NSQ_INS5_IJiNS_17integral_constantIiLi128EEEEEELb0EEENSF_INS2A_IiLi2EEEEEEEENS5_IJSU_SV_SW_SX_SY_SZ_S10_S11_S12_S13_S14_S15_S16_S17_S18_S19_S1A_NST_IJLi23EEEES1J_NST_IJLi24EEEEEEENS5_IJS1C_S10_S11_S12_S13_S14_S1D_S1E_S1F_S1G_S1H_S17_S18_S1A_S19_S1I_S1J_NST_IJLi26EEEENST_IJLi27ELi28EEEENST_IJLi29EEEEEEENST_IJLi26ELi27ELi28ELi29EEEElEENSB_INS5_IJSR_SP_SP_SR_SG_SG_S2D_S2F_EEENS5_IJSU_SV_SW_SY_SX_SZ_S11_S10_EEENS5_IJS1P_SX_SY_S1Q_S11_S12_NST_IJLi9ELi10EEEES1D_EEENST_IJLi8ELi9ELi10ELi11EEEElEENS5_IJNSB_INS5_IJSK_SP_SP_NSQ_INS5_IJiS2E_NS2A_IiLi64EEEEEELb0EEES2Y_EEENS5_IJSU_SV_SW_SX_SY_EEENS5_IJS1P_SX_SY_NST_IJLi5ELi6ELi7EEEENST_IJLi8ELi9ELi10EEEEEEENST_IJLi5ELi6ELi7ELi8ELi9ELi10EEEElEEEEES35_NS_31BlockToCTileMap_M00_N00_M01_N01ILi128ELi128ES1Y_Lb0EEENS1_30ComputePtrOffsetOfStridedBatchILi1ELi1ELi1EvEELb1ELb0EEEvPKT0_S3D_T1_PT2_T3_T4_T5_iT6_T7_T8_T9_T10_T11_
; %bb.0:
	s_clause 0x6
	s_load_dword s0, s[4:5], 0x24
	s_load_dwordx4 s[28:31], s[4:5], 0x3c
	s_load_dword s74, s[4:5], 0x4c
	s_load_dword s2, s[4:5], 0x300
	s_load_dwordx8 s[12:19], s[4:5], 0x2d8
	s_load_dwordx8 s[20:27], s[4:5], 0xec
	s_load_dwordx4 s[48:51], s[4:5], 0x2c0
	v_lshrrev_b32_e32 v22, 1, v0
	s_load_dwordx4 s[60:63], s[4:5], 0xd8
	s_mov_b32 s39, 0x31014000
	v_lshlrev_b32_e32 v88, 1, v0
	v_mov_b32_e32 v54, 0
	v_mov_b32_e32 v34, 0
	;; [unrolled: 1-line block ×4, first 2 shown]
	v_and_b32_e32 v90, 0x1f8, v88
	v_mov_b32_e32 v56, 0
	v_mov_b32_e32 v32, 0
	;; [unrolled: 1-line block ×4, first 2 shown]
	s_waitcnt lgkmcnt(0)
	s_abs_i32 s1, s0
	v_mov_b32_e32 v58, 0
	v_cvt_f32_u32_e32 v1, s1
	s_sub_i32 s7, 0, s1
	s_abs_i32 s8, s2
	s_xor_b32 s0, s2, s0
	v_mov_b32_e32 v28, 0
	v_rcp_iflag_f32_e32 v1, v1
	s_ashr_i32 s0, s0, 31
	v_mov_b32_e32 v29, 0
	v_mov_b32_e32 v62, 0
	;; [unrolled: 1-line block ×8, first 2 shown]
	v_mul_f32_e32 v1, 0x4f7ffffe, v1
	v_mov_b32_e32 v27, 0
	v_mov_b32_e32 v68, 0
	;; [unrolled: 1-line block ×4, first 2 shown]
	v_cvt_u32_f32_e32 v1, v1
	v_mov_b32_e32 v25, 0
	v_mov_b32_e32 v70, 0
	;; [unrolled: 1-line block ×4, first 2 shown]
	v_readfirstlane_b32 s3, v1
	v_mov_b32_e32 v42, 0
	v_mov_b32_e32 v72, 0
	;; [unrolled: 1-line block ×4, first 2 shown]
	s_mul_i32 s7, s7, s3
	v_mov_b32_e32 v41, 0
	s_mul_hi_u32 s7, s3, s7
	v_mov_b32_e32 v74, 0
	s_add_i32 s3, s3, s7
	v_mov_b32_e32 v75, 0
	s_mul_hi_u32 s3, s8, s3
	v_mov_b32_e32 v45, 0
	s_mul_i32 s2, s3, s1
	s_add_i32 s7, s3, 1
	s_sub_i32 s2, s8, s2
	v_mov_b32_e32 v44, 0
	s_sub_i32 s8, s2, s1
	s_cmp_ge_u32 s2, s1
	v_mov_b32_e32 v76, 0
	s_cselect_b32 s3, s7, s3
	s_cselect_b32 s2, s8, s2
	s_add_i32 s7, s3, 1
	s_cmp_ge_u32 s2, s1
	s_clause 0x1
	s_load_dwordx4 s[8:11], s[4:5], 0x0
	s_load_dwordx2 s[66:67], s[4:5], 0x18
	s_cselect_b32 s1, s7, s3
	s_abs_i32 s7, s6
	s_xor_b32 s1, s1, s0
	v_mov_b32_e32 v77, 0
	s_sub_i32 s0, s1, s0
	v_mov_b32_e32 v46, 0
	s_abs_i32 s1, s0
	s_xor_b32 s0, s6, s0
	v_cvt_f32_u32_e32 v1, s1
	s_sub_i32 s3, 0, s1
	s_ashr_i32 s33, s0, 31
	v_mov_b32_e32 v47, 0
	v_mov_b32_e32 v78, 0
	v_rcp_iflag_f32_e32 v1, v1
	v_mov_b32_e32 v79, 0
	v_mov_b32_e32 v51, 0
	;; [unrolled: 1-line block ×9, first 2 shown]
	v_mul_f32_e32 v1, 0x4f7ffffe, v1
	v_mov_b32_e32 v52, 0
	v_mov_b32_e32 v53, 0
	v_mov_b32_e32 v84, 0
	v_mov_b32_e32 v85, 0
	v_cvt_u32_f32_e32 v1, v1
	v_mov_b32_e32 v59, 0
	v_mov_b32_e32 v60, 0
	;; [unrolled: 1-line block ×4, first 2 shown]
	v_readfirstlane_b32 s2, v1
	v_lshlrev_b32_e32 v1, 3, v0
	v_mov_b32_e32 v67, 0
	v_mov_b32_e32 v39, 0
	;; [unrolled: 1-line block ×3, first 2 shown]
	s_mul_i32 s3, s3, s2
	v_and_b32_e32 v21, 8, v1
	s_mul_hi_u32 s3, s2, s3
	v_mov_b32_e32 v63, 0
	s_add_i32 s2, s2, s3
	v_mov_b32_e32 v61, 0
	s_mul_hi_u32 s2, s7, s2
	v_or_b32_e32 v1, 4, v21
	s_mul_i32 s3, s2, s1
	v_or_b32_e32 v103, 20, v21
	s_sub_i32 s0, s7, s3
	s_add_i32 s3, s2, 1
	s_sub_i32 s7, s0, s1
	s_cmp_ge_u32 s0, s1
	v_mov_b32_e32 v36, 0
	s_cselect_b32 s2, s3, s2
	s_cselect_b32 s0, s7, s0
	s_add_i32 s3, s2, 1
	s_cmp_ge_u32 s0, s1
	v_mov_b32_e32 v37, 0
	s_cselect_b32 s0, s3, s2
	s_mov_b32 s43, s39
	s_xor_b32 s7, s0, s33
	s_clause 0x1
	s_load_dwordx4 s[0:3], s[4:5], 0x298
	s_load_dwordx4 s[52:55], s[4:5], 0x2ac
	s_sub_i32 s75, s7, s33
	s_load_dword s33, s[4:5], 0x27c
	s_ashr_i32 s76, s75, 31
	s_mul_hi_u32 s7, s12, s75
	s_mul_i32 s27, s15, s75
	s_mul_i32 s15, s12, s76
	;; [unrolled: 1-line block ×3, first 2 shown]
	s_add_i32 s7, s7, s15
	s_mul_i32 s34, s12, s75
	s_mul_hi_u32 s23, s14, s75
	s_mul_i32 s12, s14, s75
	s_mul_i32 s14, s14, s76
	s_add_i32 s35, s7, s13
	s_add_i32 s7, s23, s14
	s_lshl_b64 s[14:15], s[34:35], 1
	s_add_i32 s13, s7, s27
	s_waitcnt lgkmcnt(0)
	s_add_u32 s36, s8, s14
	s_addc_u32 s23, s9, s15
	s_lshl_b64 s[8:9], s[12:13], 1
	s_mul_hi_u32 s7, s55, s6
	s_add_u32 s40, s10, s8
	s_addc_u32 s27, s11, s9
	s_add_i32 s8, s6, s7
	s_clause 0x1
	s_load_dword s7, s[4:5], 0x13c
	s_load_dwordx4 s[44:47], s[4:5], 0x10c
	s_lshr_b32 s35, s8, s51
	s_and_b32 s41, s27, 0xffff
	s_mul_hi_u32 s8, s35, s54
	s_add_i32 s34, s35, s8
	s_load_dwordx8 s[8:15], s[4:5], 0xb8
	s_waitcnt lgkmcnt(0)
	s_lshr_b32 s15, s34, s50
	s_clause 0x1
	s_load_dword s34, s[4:5], 0x28c
	s_load_dwordx2 s[64:65], s[4:5], 0x260
	s_mul_hi_u32 s11, s15, s53
	s_add_i32 s11, s15, s11
	s_lshr_b32 s11, s11, s49
	s_mul_hi_u32 s37, s11, s52
	s_mul_i32 s1, s11, s1
	s_add_i32 s37, s11, s37
	s_sub_i32 s1, s15, s1
	v_mul_lo_u32 v92, s7, v1
	v_mul_lo_u32 v23, s7, v21
	s_lshr_b32 s37, s37, s48
	s_mul_i32 s37, s37, s0
	s_mul_i32 s0, s15, s2
	s_sub_i32 s2, s11, s37
	s_sub_i32 s0, s35, s0
	v_mul_hi_u32 v2, v92, s26
	v_mul_hi_u32 v1, v23, s26
	s_mul_i32 s2, s2, s33
	s_mul_i32 s35, s35, s3
	s_add_i32 s33, s0, s2
	s_load_dword s0, s[4:5], 0x120
	s_waitcnt lgkmcnt(0)
	s_load_dword s65, s[4:5], 0x12c
	v_lshl_or_b32 v114, s33, 7, v22
	s_clause 0x1
	s_load_dword s77, s[4:5], 0x58
	s_load_dwordx4 s[48:51], s[4:5], 0x54
	v_add_nc_u32_e32 v2, v92, v2
	v_add_nc_u32_e32 v1, v23, v1
	s_waitcnt lgkmcnt(0)
	s_clause 0x3
	s_load_dword s49, s[4:5], 0x64
	s_load_dwordx4 s[52:55], s[4:5], 0x60
	s_load_dword s51, s[4:5], 0x70
	s_load_dwordx4 s[56:59], s[4:5], 0x6c
	v_mul_hi_u32 v3, v114, s14
	s_clause 0x2
	s_load_dwordx2 s[68:69], s[4:5], 0x88
	s_load_dwordx2 s[70:71], s[4:5], 0x98
	;; [unrolled: 1-line block ×3, first 2 shown]
	v_lshrrev_b32_e32 v2, s46, v2
	v_lshrrev_b32_e32 v1, s46, v1
	s_sub_i32 s47, s6, s35
	s_mul_i32 s1, s1, s34
	s_mov_b32 s11, s39
	v_mul_hi_u32 v5, v2, s25
	v_mul_hi_u32 v4, v1, s25
	v_add_nc_u32_e32 v3, v114, v3
	v_mul_lo_u32 v8, v2, s22
	v_mul_lo_u32 v7, v1, s22
	s_add_i32 s47, s47, s1
	s_and_b32 s37, s23, 0xffff
	v_lshrrev_b32_e32 v6, s62, v3
	v_add_nc_u32_e32 v5, v2, v5
	v_add_nc_u32_e32 v4, v1, v4
	v_lshl_or_b32 v117, s47, 7, v22
	v_sub_nc_u32_e32 v93, v92, v8
	v_mul_hi_u32 v3, v6, s13
	v_lshrrev_b32_e32 v5, s45, v5
	v_lshrrev_b32_e32 v4, s45, v4
	v_sub_nc_u32_e32 v7, v23, v7
	v_lshlrev_b32_e32 v22, 2, v22
	s_waitcnt lgkmcnt(0)
	s_sub_i32 s56, s56, s58
	v_mul_hi_u32 v10, v5, s24
	v_mul_hi_u32 v9, v4, s24
	v_add_nc_u32_e32 v3, v6, v3
	v_mul_lo_u32 v12, v5, s21
	v_lshl_or_b32 v97, v21, 9, v22
	v_or_b32_e32 v22, 32, v21
	v_cmp_gt_i32_e64 s1, s65, v23
	v_lshrrev_b32_e32 v11, s61, v3
	v_add_nc_u32_e32 v10, v5, v10
	v_add_nc_u32_e32 v8, v4, v9
	v_mul_lo_u32 v3, v4, s21
	v_sub_nc_u32_e32 v94, v2, v12
	v_mul_hi_u32 v13, v11, s12
	v_lshrrev_b32_e32 v95, s44, v10
	v_lshrrev_b32_e32 v2, s44, v8
	s_clause 0x6
	s_load_dword s2, s[4:5], 0x160
	s_load_dword s13, s[4:5], 0x198
	;; [unrolled: 1-line block ×5, first 2 shown]
	s_load_dwordx2 s[62:63], s[4:5], 0x1d0
	s_load_dword s53, s[4:5], 0x188
	v_mul_lo_u32 v104, s7, v22
	s_sub_i32 s52, s52, s54
	v_mul_lo_u32 v12, v95, s20
	v_mul_lo_u32 v10, v2, s20
	v_add_nc_u32_e32 v9, v11, v13
	v_sub_nc_u32_e32 v1, v1, v3
	v_sub_nc_u32_e32 v3, v93, v7
	;; [unrolled: 1-line block ×3, first 2 shown]
	v_mul_lo_u32 v2, v2, s68
	v_lshrrev_b32_e32 v8, s60, v9
	v_sub_nc_u32_e32 v96, v5, v12
	v_mul_lo_u32 v5, v6, s10
	v_sub_nc_u32_e32 v9, v94, v1
	v_sub_nc_u32_e32 v4, v4, v10
	v_mul_lo_u32 v12, v11, s9
	v_mul_lo_u32 v1, v1, s72
	;; [unrolled: 1-line block ×6, first 2 shown]
	v_sub_nc_u32_e32 v5, v114, v5
	v_sub_nc_u32_e32 v4, v96, v4
	v_mul_lo_u32 v13, v8, s8
	v_sub_nc_u32_e32 v6, v6, v12
	s_waitcnt lgkmcnt(0)
	v_mul_lo_u32 v115, s13, v21
	v_mad_u64_u32 v[17:18], null, v5, s73, v[1:2]
	v_mul_lo_u32 v10, v116, s31
	v_mad_u64_u32 v[18:19], null, v6, s71, v[3:4]
	v_mul_lo_u32 v3, v119, s29
	v_sub_nc_u32_e32 v1, v11, v13
	v_mul_lo_u32 v120, v4, s70
	v_mul_lo_u32 v4, v7, s74
	;; [unrolled: 1-line block ×4, first 2 shown]
	s_lshl_b32 s6, s13, 2
	s_lshl_b32 s10, s14, 1
	v_mad_u64_u32 v[19:20], null, v1, s69, v[2:3]
	v_subrev_nc_u32_e32 v1, s51, v17
	v_subrev_nc_u32_e32 v2, s49, v18
	v_add3_u32 v9, v10, v9, v3
	v_mul_lo_u32 v10, v120, s30
	v_add_nc_u32_e32 v5, v121, v115
	v_mul_lo_u32 v1, v1, s31
	v_mul_lo_u32 v2, v2, s30
	v_subrev_nc_u32_e32 v3, s77, v19
	s_mov_b32 s8, s40
	s_mov_b32 s9, s41
	s_lshl_b32 s38, s2, 1
	v_lshrrev_b32_e32 v20, 5, v0
	v_mul_lo_u32 v7, v3, s29
	v_lshlrev_b32_e32 v3, 1, v5
	v_add3_u32 v8, v1, v4, v2
	v_add_lshl_u32 v5, v5, s6, 1
	v_lshlrev_b32_e32 v89, 6, v20
	v_lshlrev_b32_e32 v20, 3, v20
	buffer_load_dwordx4 v[1:4], v3, s[8:11], 0 offen
	v_lshlrev_b32_e32 v0, 2, v0
	v_add3_u32 v11, v8, v6, v7
	buffer_load_dwordx4 v[5:8], v5, s[8:11], 0 offen
	s_load_dword s8, s[4:5], 0x148
	v_sub_nc_u32_e32 v89, v90, v89
	v_and_or_b32 v91, v88, 4, v20
	v_add3_u32 v118, v9, v10, v11
	v_lshlrev_b32_e32 v9, 1, v11
	v_or_b32_e32 v20, 36, v21
	v_or_b32_e32 v21, 16, v21
	v_and_or_b32 v90, v0, 4, v89
	v_lshlrev_b32_e32 v13, 1, v118
	s_clause 0x1
	buffer_load_dwordx4 v[9:12], v9, s[36:39], 0 offen
	buffer_load_dwordx4 v[13:16], v13, s[36:39], 0 offen
	v_cmp_gt_i32_e64 s3, s53, v115
	v_add_nc_u32_e32 v0, s6, v115
	v_add_nc_u32_e32 v115, v17, v116
	s_clause 0x5
	s_load_dword s15, s[4:5], 0x22c
	s_load_dword s23, s[4:5], 0x238
	;; [unrolled: 1-line block ×4, first 2 shown]
	s_load_dwordx2 s[60:61], s[4:5], 0x210
	s_load_dwordx2 s[34:35], s[4:5], 0x220
	s_mul_i32 s9, s7, 12
	v_mul_lo_u32 v100, s13, v103
	v_mul_lo_u32 v102, s7, v21
	;; [unrolled: 1-line block ×4, first 2 shown]
	s_lshl_b32 s71, s7, 2
	s_waitcnt lgkmcnt(0)
	s_lshl_b32 s61, s7, 5
	v_cmp_gt_i32_e64 s7, s56, v17
	v_cmp_gt_i32_e64 s2, s65, v92
	s_add_i32 s71, s71, s9
	v_cmp_gt_i32_e64 s9, s56, v115
	v_cmp_gt_i32_e32 vcc_lo, s12, v117
	s_and_b32 s11, s7, s1
	v_cmp_le_i32_e64 s1, s51, v115
	v_add_nc_u32_e32 v117, v18, v120
	s_sub_i32 s48, s48, s50
	s_sub_i32 s50, s8, 32
	s_mov_b32 s42, s10
	v_cmp_le_i32_e64 s8, s51, v17
	v_cmp_le_i32_e64 s7, s49, v18
	v_cmp_gt_i32_e64 s10, s52, v18
	v_add_nc_u32_e32 v116, v19, v119
	s_and_b32 s2, s9, s2
	v_mul_lo_u32 v98, s13, v20
	s_and_b32 s12, s2, s1
	v_cmp_le_i32_e64 s1, s49, v117
	v_cmp_gt_i32_e64 s2, s52, v117
	v_mul_lo_u32 v99, s13, v22
	v_mul_lo_u32 v101, s13, v21
	s_lshl_b32 s54, s13, 5
	s_lshl_b32 s58, s13, 6
	s_and_b32 s11, s11, s8
	s_and_b32 s13, s7, s10
	v_cmp_le_i32_e64 s7, s77, v19
	v_cmp_gt_i32_e64 s8, s48, v19
	v_cmp_le_i32_e64 s9, s77, v116
	v_cmp_gt_i32_e64 s10, s48, v116
	s_and_b32 s1, s1, s2
	v_cmp_gt_i32_e64 s6, s53, v0
	s_and_b32 s2, s11, s13
	s_and_b32 s1, s12, s1
	;; [unrolled: 1-line block ×4, first 2 shown]
	v_cmp_gt_i32_e64 s0, s0, v114
	s_and_b32 s2, s2, s7
	s_and_b32 s7, s1, s8
	s_and_b32 s1, s3, vcc_lo
	v_lshlrev_b32_e32 v88, 2, v91
	v_lshlrev_b32_e32 v89, 2, v90
	;; [unrolled: 1-line block ×6, first 2 shown]
	v_mov_b32_e32 v110, v105
	v_mov_b32_e32 v111, v104
	;; [unrolled: 1-line block ×4, first 2 shown]
	v_lshlrev_b32_e32 v114, 1, v121
	s_mov_b32 s55, 0
	s_mov_b32 s57, 0
	;; [unrolled: 1-line block ×3, first 2 shown]
	s_sub_i32 s69, 0, s22
	s_waitcnt vmcnt(3)
	v_cndmask_b32_e64 v2, 0, v2, s1
	v_cndmask_b32_e64 v1, 0, v1, s1
	;; [unrolled: 1-line block ×4, first 2 shown]
	s_and_b32 s1, s6, vcc_lo
	ds_write2st64_b32 v97, v1, v2 offset0:64 offset1:66
	ds_write2st64_b32 v97, v3, v0 offset0:68 offset1:70
	s_waitcnt vmcnt(2)
	v_cndmask_b32_e64 v4, 0, v8, s1
	v_cndmask_b32_e64 v7, 0, v7, s1
	;; [unrolled: 1-line block ×4, first 2 shown]
	s_and_b32 s1, s0, s2
	s_waitcnt vmcnt(1)
	v_cndmask_b32_e64 v0, 0, v12, s1
	v_cndmask_b32_e64 v1, 0, v11, s1
	;; [unrolled: 1-line block ×4, first 2 shown]
	s_and_b32 s1, s0, s7
	s_waitcnt vmcnt(0)
	v_cndmask_b32_e64 v9, 0, v14, s1
	v_cndmask_b32_e64 v10, 0, v13, s1
	v_cndmask_b32_e64 v8, 0, v16, s1
	v_cndmask_b32_e64 v11, 0, v15, s1
	ds_write2st64_b32 v97, v5, v6 offset0:72 offset1:74
	ds_write2st64_b32 v97, v3, v2 offset1:2
	ds_write2st64_b32 v97, v1, v0 offset0:4 offset1:6
	ds_write2st64_b32 v97, v10, v9 offset0:8 offset1:10
	ds_write2st64_b32 v97, v11, v8 offset0:12 offset1:14
	ds_write2st64_b32 v97, v7, v4 offset0:76 offset1:78
.LBB10_1:                               ; =>This Inner Loop Header: Depth=1
	v_mul_hi_u32 v12, s26, v112
	v_add_nc_u32_e32 v8, s55, v103
	v_mul_hi_u32 v11, s26, v113
	v_add_nc_u32_e32 v13, s55, v102
	v_mul_hi_u32 v14, s26, v111
	v_mul_hi_u32 v15, s26, v110
	v_add_nc_u32_e32 v19, s57, v100
	v_add_nc_u32_e32 v9, s55, v104
	;; [unrolled: 1-line block ×6, first 2 shown]
	v_cmp_gt_i32_e64 s7, s53, v19
	v_lshrrev_b32_e32 v19, s46, v12
	v_add_nc_u32_e32 v14, v9, v14
	v_add_nc_u32_e32 v15, v10, v15
	;; [unrolled: 1-line block ×3, first 2 shown]
	v_cmp_gt_i32_e64 s1, s53, v18
	v_lshrrev_b32_e32 v18, s46, v11
	v_mad_u64_u32 v[11:12], null, s69, v19, v[8:9]
	v_lshrrev_b32_e32 v14, s46, v14
	v_lshrrev_b32_e32 v15, s46, v15
	v_cmp_gt_i32_e64 s3, s53, v20
	v_mul_hi_u32 v20, v18, s25
	v_cmp_gt_i32_e64 s8, s65, v8
	v_cmp_gt_i32_e64 s10, s65, v9
	v_mad_u64_u32 v[8:9], null, s69, v14, v[9:10]
	v_cmp_gt_i32_e64 s11, s65, v10
	v_mad_u64_u32 v[9:10], null, s69, v15, v[10:11]
	v_add_nc_u32_e32 v21, s57, v98
	v_mul_hi_u32 v22, v19, s25
	v_mul_hi_u32 v10, v14, s25
	;; [unrolled: 1-line block ×3, first 2 shown]
	v_add_nc_u32_e32 v20, v18, v20
	v_cmp_gt_i32_e64 s6, s53, v21
	v_mul_lo_u32 v21, s69, v18
	v_mul_lo_u32 v23, v15, s22
	v_sub_nc_u32_e32 v120, v8, v11
	v_add_nc_u32_e32 v22, v19, v22
	v_sub_nc_u32_e32 v8, v9, v8
	v_add_nc_u32_e32 v9, v14, v10
	v_add_nc_u32_e32 v10, v15, v12
	v_lshrrev_b32_e32 v12, s45, v20
	v_add3_u32 v92, s71, s71, v92
	v_sub_nc_u32_e32 v119, v21, v93
	v_lshrrev_b32_e32 v20, s45, v22
	v_lshrrev_b32_e32 v9, s45, v9
	v_mul_hi_u32 v22, v12, s24
	v_sub_nc_u32_e32 v93, v92, v23
	v_mul_lo_u32 v23, v12, s21
	v_add_nc_u32_e32 v21, v13, v21
	v_lshrrev_b32_e32 v10, s45, v10
	v_cmp_gt_i32_e64 s9, s65, v13
	v_add_nc_u32_e32 v13, v13, v119
	v_mul_hi_u32 v119, v20, s24
	v_mul_hi_u32 v122, v9, s24
	v_mul_lo_u32 v121, v9, s21
	v_sub_nc_u32_e32 v11, v11, v21
	v_mul_lo_u32 v21, v120, s74
	v_mul_lo_u32 v120, v20, s21
	v_mul_hi_u32 v123, v10, s24
	v_add_nc_u32_e32 v22, v12, v22
	v_mul_lo_u32 v124, v10, s21
	v_sub_nc_u32_e32 v18, v18, v23
	v_add_nc_u32_e32 v23, v20, v119
	v_add_nc_u32_e32 v119, v9, v122
	v_lshrrev_b32_e32 v22, s44, v22
	v_sub_nc_u32_e32 v14, v14, v121
	v_sub_nc_u32_e32 v121, v18, v94
	;; [unrolled: 1-line block ×3, first 2 shown]
	v_add_nc_u32_e32 v120, v10, v123
	v_lshrrev_b32_e32 v23, s44, v23
	v_lshrrev_b32_e32 v119, s44, v119
	v_sub_nc_u32_e32 v94, v15, v124
	v_mul_lo_u32 v15, v22, s20
	v_mul_lo_u32 v121, v121, s72
	v_sub_nc_u32_e32 v18, v19, v18
	v_sub_nc_u32_e32 v122, v22, v95
	v_lshrrev_b32_e32 v95, s44, v120
	v_mul_lo_u32 v123, v23, s20
	v_mul_lo_u32 v120, v119, s20
	v_sub_nc_u32_e32 v19, v14, v19
	v_sub_nc_u32_e32 v22, v23, v22
	v_mul_lo_u32 v18, v18, s72
	v_sub_nc_u32_e32 v23, v119, v23
	v_sub_nc_u32_e32 v14, v94, v14
	;; [unrolled: 1-line block ×4, first 2 shown]
	v_mul_lo_u32 v122, v122, s68
	v_mul_lo_u32 v13, v13, s74
	;; [unrolled: 1-line block ×3, first 2 shown]
	v_add_nc_u32_e32 v115, v121, v115
	v_mul_lo_u32 v19, v19, s72
	v_mul_lo_u32 v14, v14, s72
	;; [unrolled: 1-line block ×3, first 2 shown]
	v_sub_nc_u32_e32 v20, v20, v123
	v_sub_nc_u32_e32 v9, v9, v120
	v_mul_lo_u32 v119, v119, s68
	v_sub_nc_u32_e32 v120, v12, v96
	v_mul_lo_u32 v123, v18, s31
	v_cmp_gt_i32_e64 s12, s56, v115
	v_add_nc_u32_e32 v18, v18, v115
	v_add_nc_u32_e32 v116, v122, v116
	v_mul_lo_u32 v22, v22, s68
	v_sub_nc_u32_e32 v12, v20, v12
	v_add3_u32 v13, v13, v118, v15
	v_mul_lo_u32 v15, v120, s70
	v_mul_lo_u32 v8, v8, s74
	;; [unrolled: 1-line block ×3, first 2 shown]
	v_sub_nc_u32_e32 v96, v10, v124
	v_sub_nc_u32_e32 v10, v9, v20
	v_mul_lo_u32 v20, v119, s29
	s_and_b32 s73, s12, s9
	v_cmp_le_i32_e64 s9, s51, v18
	v_cmp_gt_i32_e64 s12, s56, v18
	v_add_nc_u32_e32 v18, v19, v18
	v_cmp_le_i32_e64 s13, s77, v116
	v_cmp_gt_i32_e64 s14, s48, v116
	v_mul_lo_u32 v23, v23, s68
	v_mul_lo_u32 v12, v12, s70
	s_and_b32 s2, vcc_lo, s1
	s_and_b32 s1, vcc_lo, s7
	v_mul_lo_u32 v11, v11, s74
	v_mul_lo_u32 v121, v122, s29
	;; [unrolled: 1-line block ×3, first 2 shown]
	v_cmp_le_i32_e64 s7, s51, v115
	v_add_nc_u32_e32 v22, v22, v116
	v_add_nc_u32_e32 v115, v14, v18
	v_mul_lo_u32 v14, v15, s30
	s_and_b32 s79, s13, s14
	s_and_b32 s14, s12, s8
	v_cmp_gt_i32_e64 s12, s56, v18
	v_cmp_le_i32_e64 s13, s51, v18
	v_add3_u32 v18, v128, v8, v20
	v_add_nc_u32_e32 v8, v15, v117
	v_mul_lo_u32 v125, v19, s31
	s_and_b32 s78, s73, s7
	v_cmp_le_i32_e64 s7, s77, v22
	v_cmp_gt_i32_e64 s8, s48, v22
	v_add_nc_u32_e32 v19, v23, v22
	v_mul_lo_u32 v22, v12, s30
	s_and_b32 s12, s12, s10
	v_mul_lo_u32 v10, v10, s70
	v_add3_u32 v11, v123, v11, v126
	s_and_b32 s82, s12, s13
	v_cmp_le_i32_e64 s12, s49, v8
	v_cmp_gt_i32_e64 s13, s52, v8
	v_add_nc_u32_e32 v8, v12, v8
	v_add3_u32 v12, v13, v121, v14
	v_mul_lo_u32 v127, v23, s29
	v_sub_nc_u32_e32 v9, v96, v9
	s_and_b32 s80, s14, s9
	v_cmp_gt_i32_e64 s9, s56, v115
	s_and_b32 s81, s7, s8
	v_cmp_le_i32_e64 s7, s77, v19
	v_cmp_gt_i32_e64 s8, s48, v19
	v_add_nc_u32_e32 v116, v119, v19
	v_cmp_le_i32_e64 s10, s51, v115
	v_add3_u32 v13, v11, v12, v22
	v_mul_lo_u32 v9, v9, s70
	v_mul_lo_u32 v15, v10, s30
	s_and_b32 s9, s9, s11
	v_add_nc_u32_e32 v0, v109, v114
	v_add3_u32 v21, v125, v21, v127
	s_and_b32 s14, s7, s8
	v_cmp_le_i32_e64 s7, s77, v116
	v_cmp_gt_i32_e64 s8, s48, v116
	s_and_b32 s73, s9, s10
	v_cmp_le_i32_e64 s9, s49, v8
	v_cmp_gt_i32_e64 s10, s52, v8
	v_add_nc_u32_e32 v8, v10, v8
	v_lshlrev_b32_e32 v10, 1, v12
	v_lshlrev_b32_e32 v12, 1, v13
	v_add_nc_u32_e32 v1, v108, v114
	s_clause 0x1
	buffer_load_dwordx4 v[4:7], v0, s[40:43], 0 offen
	buffer_load_dwordx4 v[0:3], v1, s[40:43], 0 offen
	v_mul_lo_u32 v19, v9, s30
	s_and_b32 s11, s12, s13
	s_and_b32 s13, s7, s8
	v_cmp_le_i32_e64 s7, s49, v8
	v_cmp_gt_i32_e64 s8, s52, v8
	v_add_nc_u32_e32 v117, v9, v8
	buffer_load_dwordx4 v[8:11], v10, s[36:39], 0 offen
	v_add3_u32 v20, v21, v15, v13
	buffer_load_dwordx4 v[12:15], v12, s[36:39], 0 offen
	s_waitcnt lgkmcnt(0)
	s_barrier
	ds_read_b128 v[118:121], v88
	ds_read_b128 v[122:125], v89 offset:16384
	ds_read_b128 v[126:129], v89 offset:16640
	;; [unrolled: 1-line block ×5, first 2 shown]
	v_add_nc_u32_e32 v17, v107, v114
	v_add_nc_u32_e32 v16, v106, v114
	s_and_b32 s9, s9, s10
	s_and_b32 s11, s78, s11
	;; [unrolled: 1-line block ×9, first 2 shown]
	s_and_b32 s12, vcc_lo, s6
	v_cmp_le_i32_e64 s7, s49, v117
	v_cmp_gt_i32_e64 s8, s52, v117
	s_and_b32 s11, vcc_lo, s3
	s_waitcnt lgkmcnt(4)
	v_dot2c_f32_f16 v87, v118, v122
	v_dot2c_f32_f16 v86, v118, v123
	;; [unrolled: 1-line block ×16, first 2 shown]
	s_waitcnt lgkmcnt(3)
	v_dot2c_f32_f16 v85, v118, v126
	v_dot2c_f32_f16 v84, v118, v127
	;; [unrolled: 1-line block ×16, first 2 shown]
	ds_read_b128 v[118:121], v89 offset:17152
	s_waitcnt lgkmcnt(3)
	v_dot2c_f32_f16 v71, v130, v122
	v_dot2c_f32_f16 v70, v130, v123
	;; [unrolled: 1-line block ×16, first 2 shown]
	ds_read_b128 v[122:125], v88 offset:768
	v_dot2c_f32_f16 v69, v130, v126
	v_dot2c_f32_f16 v68, v130, v127
	;; [unrolled: 1-line block ×16, first 2 shown]
	ds_read_b128 v[126:129], v88 offset:1024
	ds_read_b128 v[130:133], v89 offset:17408
	s_waitcnt lgkmcnt(4)
	v_dot2c_f32_f16 v87, v134, v138
	v_dot2c_f32_f16 v86, v134, v139
	;; [unrolled: 1-line block ×16, first 2 shown]
	s_waitcnt lgkmcnt(3)
	v_dot2c_f32_f16 v85, v134, v118
	v_dot2c_f32_f16 v84, v134, v119
	;; [unrolled: 1-line block ×16, first 2 shown]
	ds_read_b128 v[134:137], v89 offset:17664
	s_waitcnt lgkmcnt(3)
	v_dot2c_f32_f16 v71, v122, v138
	v_dot2c_f32_f16 v70, v122, v139
	;; [unrolled: 1-line block ×16, first 2 shown]
	ds_read_b128 v[138:141], v88 offset:1280
	v_dot2c_f32_f16 v69, v122, v118
	v_dot2c_f32_f16 v68, v122, v119
	;; [unrolled: 1-line block ×16, first 2 shown]
	ds_read_b128 v[118:121], v88 offset:1536
	ds_read_b128 v[122:125], v89 offset:17920
	s_waitcnt lgkmcnt(4)
	v_dot2c_f32_f16 v87, v126, v130
	v_dot2c_f32_f16 v86, v126, v131
	;; [unrolled: 1-line block ×16, first 2 shown]
	s_waitcnt lgkmcnt(3)
	v_dot2c_f32_f16 v85, v126, v134
	v_dot2c_f32_f16 v84, v126, v135
	;; [unrolled: 1-line block ×16, first 2 shown]
	ds_read_b128 v[126:129], v89 offset:18176
	s_waitcnt lgkmcnt(3)
	v_dot2c_f32_f16 v71, v138, v130
	v_dot2c_f32_f16 v70, v138, v131
	;; [unrolled: 1-line block ×16, first 2 shown]
	ds_read_b128 v[130:133], v88 offset:1792
	v_dot2c_f32_f16 v69, v138, v134
	v_dot2c_f32_f16 v68, v138, v135
	;; [unrolled: 1-line block ×16, first 2 shown]
	ds_read_b128 v[134:137], v88 offset:2048
	ds_read_b128 v[138:141], v89 offset:18432
	s_waitcnt lgkmcnt(4)
	v_dot2c_f32_f16 v87, v118, v122
	v_dot2c_f32_f16 v86, v118, v123
	;; [unrolled: 1-line block ×16, first 2 shown]
	s_waitcnt lgkmcnt(3)
	v_dot2c_f32_f16 v85, v118, v126
	v_dot2c_f32_f16 v84, v118, v127
	;; [unrolled: 1-line block ×16, first 2 shown]
	ds_read_b128 v[118:121], v89 offset:18688
	s_waitcnt lgkmcnt(3)
	v_dot2c_f32_f16 v71, v130, v122
	v_dot2c_f32_f16 v70, v130, v123
	;; [unrolled: 1-line block ×16, first 2 shown]
	ds_read_b128 v[122:125], v88 offset:2304
	v_dot2c_f32_f16 v69, v130, v126
	v_dot2c_f32_f16 v68, v130, v127
	;; [unrolled: 1-line block ×16, first 2 shown]
	ds_read_b128 v[126:129], v88 offset:2560
	ds_read_b128 v[130:133], v89 offset:18944
	s_waitcnt lgkmcnt(4)
	v_dot2c_f32_f16 v87, v134, v138
	v_dot2c_f32_f16 v86, v134, v139
	;; [unrolled: 1-line block ×16, first 2 shown]
	s_waitcnt lgkmcnt(3)
	v_dot2c_f32_f16 v85, v134, v118
	v_dot2c_f32_f16 v84, v134, v119
	;; [unrolled: 1-line block ×16, first 2 shown]
	ds_read_b128 v[134:137], v89 offset:19200
	s_waitcnt lgkmcnt(3)
	v_dot2c_f32_f16 v71, v122, v138
	v_dot2c_f32_f16 v70, v122, v139
	;; [unrolled: 1-line block ×16, first 2 shown]
	ds_read_b128 v[138:141], v88 offset:2816
	v_dot2c_f32_f16 v69, v122, v118
	v_dot2c_f32_f16 v68, v122, v119
	;; [unrolled: 1-line block ×16, first 2 shown]
	ds_read_b128 v[118:121], v88 offset:3072
	ds_read_b128 v[122:125], v89 offset:19456
	s_waitcnt lgkmcnt(4)
	v_dot2c_f32_f16 v87, v126, v130
	v_dot2c_f32_f16 v86, v126, v131
	;; [unrolled: 1-line block ×16, first 2 shown]
	s_waitcnt lgkmcnt(3)
	v_dot2c_f32_f16 v85, v126, v134
	v_dot2c_f32_f16 v84, v126, v135
	;; [unrolled: 1-line block ×16, first 2 shown]
	ds_read_b128 v[126:129], v89 offset:19712
	s_waitcnt lgkmcnt(3)
	v_dot2c_f32_f16 v71, v138, v130
	v_dot2c_f32_f16 v70, v138, v131
	;; [unrolled: 1-line block ×16, first 2 shown]
	ds_read_b128 v[130:133], v88 offset:3328
	v_dot2c_f32_f16 v69, v138, v134
	v_dot2c_f32_f16 v68, v138, v135
	;; [unrolled: 1-line block ×16, first 2 shown]
	ds_read_b128 v[134:137], v88 offset:3584
	ds_read_b128 v[138:141], v89 offset:19968
	s_waitcnt lgkmcnt(4)
	v_dot2c_f32_f16 v87, v118, v122
	v_dot2c_f32_f16 v86, v118, v123
	;; [unrolled: 1-line block ×16, first 2 shown]
	s_waitcnt lgkmcnt(3)
	v_dot2c_f32_f16 v85, v118, v126
	v_dot2c_f32_f16 v84, v118, v127
	;; [unrolled: 1-line block ×16, first 2 shown]
	ds_read_b128 v[118:121], v89 offset:20224
	s_waitcnt lgkmcnt(3)
	v_dot2c_f32_f16 v71, v130, v122
	v_dot2c_f32_f16 v70, v130, v123
	;; [unrolled: 1-line block ×16, first 2 shown]
	ds_read_b128 v[122:125], v88 offset:3840
	v_dot2c_f32_f16 v69, v130, v126
	v_dot2c_f32_f16 v68, v130, v127
	;; [unrolled: 1-line block ×16, first 2 shown]
	ds_read_b128 v[126:129], v88 offset:4096
	ds_read_b128 v[130:133], v89 offset:20480
	s_waitcnt lgkmcnt(4)
	v_dot2c_f32_f16 v87, v134, v138
	v_dot2c_f32_f16 v86, v134, v139
	;; [unrolled: 1-line block ×16, first 2 shown]
	s_waitcnt lgkmcnt(3)
	v_dot2c_f32_f16 v85, v134, v118
	v_dot2c_f32_f16 v84, v134, v119
	;; [unrolled: 1-line block ×16, first 2 shown]
	ds_read_b128 v[134:137], v89 offset:20736
	s_waitcnt lgkmcnt(3)
	v_dot2c_f32_f16 v71, v122, v138
	v_dot2c_f32_f16 v70, v122, v139
	;; [unrolled: 1-line block ×16, first 2 shown]
	ds_read_b128 v[138:141], v88 offset:4352
	v_dot2c_f32_f16 v69, v122, v118
	v_dot2c_f32_f16 v68, v122, v119
	;; [unrolled: 1-line block ×16, first 2 shown]
	ds_read_b128 v[118:121], v88 offset:4608
	ds_read_b128 v[122:125], v89 offset:20992
	s_waitcnt lgkmcnt(4)
	v_dot2c_f32_f16 v87, v126, v130
	v_dot2c_f32_f16 v86, v126, v131
	;; [unrolled: 1-line block ×16, first 2 shown]
	s_waitcnt lgkmcnt(3)
	v_dot2c_f32_f16 v85, v126, v134
	v_dot2c_f32_f16 v84, v126, v135
	;; [unrolled: 1-line block ×16, first 2 shown]
	ds_read_b128 v[126:129], v89 offset:21248
	s_waitcnt lgkmcnt(3)
	v_dot2c_f32_f16 v71, v138, v130
	v_dot2c_f32_f16 v70, v138, v131
	;; [unrolled: 1-line block ×16, first 2 shown]
	ds_read_b128 v[130:133], v88 offset:4864
	v_dot2c_f32_f16 v69, v138, v134
	v_dot2c_f32_f16 v68, v138, v135
	;; [unrolled: 1-line block ×16, first 2 shown]
	ds_read_b128 v[134:137], v88 offset:5120
	ds_read_b128 v[138:141], v89 offset:21504
	s_waitcnt lgkmcnt(4)
	v_dot2c_f32_f16 v87, v118, v122
	v_dot2c_f32_f16 v86, v118, v123
	;; [unrolled: 1-line block ×16, first 2 shown]
	s_waitcnt lgkmcnt(3)
	v_dot2c_f32_f16 v85, v118, v126
	v_dot2c_f32_f16 v84, v118, v127
	;; [unrolled: 1-line block ×16, first 2 shown]
	ds_read_b128 v[118:121], v89 offset:21760
	s_waitcnt lgkmcnt(3)
	v_dot2c_f32_f16 v71, v130, v122
	v_dot2c_f32_f16 v70, v130, v123
	;; [unrolled: 1-line block ×16, first 2 shown]
	ds_read_b128 v[122:125], v88 offset:5376
	v_dot2c_f32_f16 v69, v130, v126
	v_dot2c_f32_f16 v68, v130, v127
	;; [unrolled: 1-line block ×16, first 2 shown]
	ds_read_b128 v[126:129], v88 offset:5632
	ds_read_b128 v[130:133], v89 offset:22016
	s_waitcnt lgkmcnt(4)
	v_dot2c_f32_f16 v87, v134, v138
	v_dot2c_f32_f16 v86, v134, v139
	;; [unrolled: 1-line block ×16, first 2 shown]
	s_waitcnt lgkmcnt(3)
	v_dot2c_f32_f16 v85, v134, v118
	v_dot2c_f32_f16 v84, v134, v119
	;; [unrolled: 1-line block ×16, first 2 shown]
	ds_read_b128 v[134:137], v89 offset:22272
	s_waitcnt lgkmcnt(3)
	v_dot2c_f32_f16 v71, v122, v138
	v_dot2c_f32_f16 v70, v122, v139
	;; [unrolled: 1-line block ×16, first 2 shown]
	ds_read_b128 v[138:141], v88 offset:5888
	v_dot2c_f32_f16 v69, v122, v118
	v_dot2c_f32_f16 v68, v122, v119
	;; [unrolled: 1-line block ×16, first 2 shown]
	ds_read_b128 v[118:121], v88 offset:6144
	ds_read_b128 v[122:125], v89 offset:22528
	s_waitcnt lgkmcnt(4)
	v_dot2c_f32_f16 v87, v126, v130
	v_dot2c_f32_f16 v86, v126, v131
	;; [unrolled: 1-line block ×16, first 2 shown]
	buffer_load_dwordx4 v[142:145], v17, s[40:43], 0 offen
	s_waitcnt lgkmcnt(2)
	v_dot2c_f32_f16 v71, v138, v130
	v_dot2c_f32_f16 v70, v138, v131
	;; [unrolled: 1-line block ×16, first 2 shown]
	buffer_load_dwordx4 v[130:133], v16, s[40:43], 0 offen
	v_dot2c_f32_f16 v85, v126, v134
	v_dot2c_f32_f16 v84, v126, v135
	;; [unrolled: 1-line block ×16, first 2 shown]
	ds_read_b128 v[126:129], v89 offset:22784
	v_dot2c_f32_f16 v69, v138, v134
	v_dot2c_f32_f16 v68, v138, v135
	;; [unrolled: 1-line block ×16, first 2 shown]
	ds_read_b128 v[134:137], v88 offset:6400
	ds_read_b128 v[138:141], v88 offset:6656
	s_waitcnt lgkmcnt(3)
	v_dot2c_f32_f16 v87, v118, v122
	v_dot2c_f32_f16 v86, v118, v123
	;; [unrolled: 1-line block ×16, first 2 shown]
	s_waitcnt lgkmcnt(2)
	v_dot2c_f32_f16 v85, v118, v126
	v_dot2c_f32_f16 v84, v118, v127
	;; [unrolled: 1-line block ×16, first 2 shown]
	ds_read_b128 v[118:121], v89 offset:23040
	s_waitcnt lgkmcnt(2)
	v_dot2c_f32_f16 v71, v134, v122
	v_dot2c_f32_f16 v70, v134, v123
	;; [unrolled: 1-line block ×16, first 2 shown]
	ds_read_b128 v[122:125], v89 offset:23296
	v_dot2c_f32_f16 v69, v134, v126
	v_dot2c_f32_f16 v68, v134, v127
	;; [unrolled: 1-line block ×16, first 2 shown]
	ds_read_b128 v[126:129], v88 offset:6912
	ds_read_b128 v[134:137], v88 offset:7168
	s_waitcnt lgkmcnt(3)
	v_dot2c_f32_f16 v87, v138, v118
	v_dot2c_f32_f16 v86, v138, v119
	;; [unrolled: 1-line block ×16, first 2 shown]
	s_waitcnt lgkmcnt(2)
	v_dot2c_f32_f16 v85, v138, v122
	v_dot2c_f32_f16 v84, v138, v123
	;; [unrolled: 1-line block ×16, first 2 shown]
	ds_read_b128 v[138:141], v89 offset:23552
	s_waitcnt lgkmcnt(2)
	v_dot2c_f32_f16 v71, v126, v118
	v_dot2c_f32_f16 v70, v126, v119
	;; [unrolled: 1-line block ×16, first 2 shown]
	ds_read_b128 v[118:121], v89 offset:23808
	v_dot2c_f32_f16 v69, v126, v122
	v_dot2c_f32_f16 v68, v126, v123
	;; [unrolled: 1-line block ×16, first 2 shown]
	ds_read_b128 v[122:125], v88 offset:7424
	ds_read_b128 v[126:129], v88 offset:7680
	v_lshlrev_b32_e32 v16, 1, v20
	s_waitcnt lgkmcnt(3)
	v_dot2c_f32_f16 v87, v134, v138
	s_waitcnt lgkmcnt(2)
	v_dot2c_f32_f16 v85, v134, v118
	v_dot2c_f32_f16 v81, v135, v118
	;; [unrolled: 1-line block ×16, first 2 shown]
	s_waitcnt lgkmcnt(1)
	v_dot2c_f32_f16 v69, v122, v118
	v_dot2c_f32_f16 v64, v123, v118
	;; [unrolled: 1-line block ×4, first 2 shown]
	v_add3_u32 v118, v18, v19, v20
	buffer_load_dwordx4 v[20:23], v16, s[36:39], 0 offen
	v_dot2c_f32_f16 v74, v137, v139
	v_dot2c_f32_f16 v41, v137, v140
	;; [unrolled: 1-line block ×3, first 2 shown]
	v_lshlrev_b32_e32 v17, 1, v118
	v_dot2c_f32_f16 v84, v134, v119
	v_dot2c_f32_f16 v53, v134, v120
	;; [unrolled: 1-line block ×4, first 2 shown]
	buffer_load_dwordx4 v[16:19], v17, s[36:39], 0 offen
	v_dot2c_f32_f16 v50, v135, v120
	v_dot2c_f32_f16 v51, v135, v121
	;; [unrolled: 1-line block ×8, first 2 shown]
	ds_read_b128 v[134:137], v89 offset:24064
	v_dot2c_f32_f16 v71, v122, v138
	v_dot2c_f32_f16 v70, v122, v139
	v_dot2c_f32_f16 v25, v122, v140
	v_dot2c_f32_f16 v24, v122, v141
	v_dot2c_f32_f16 v66, v123, v138
	v_dot2c_f32_f16 v65, v123, v139
	v_dot2c_f32_f16 v31, v123, v140
	v_dot2c_f32_f16 v30, v123, v141
	v_dot2c_f32_f16 v58, v124, v138
	v_dot2c_f32_f16 v57, v124, v139
	v_dot2c_f32_f16 v33, v124, v140
	v_dot2c_f32_f16 v32, v124, v141
	v_dot2c_f32_f16 v54, v125, v138
	v_dot2c_f32_f16 v67, v125, v139
	v_dot2c_f32_f16 v39, v125, v140
	v_dot2c_f32_f16 v38, v125, v141
	ds_read_b128 v[138:141], v89 offset:24320
	v_dot2c_f32_f16 v68, v122, v119
	v_dot2c_f32_f16 v27, v122, v120
	v_dot2c_f32_f16 v26, v122, v121
	v_dot2c_f32_f16 v62, v123, v119
	v_dot2c_f32_f16 v29, v123, v120
	v_dot2c_f32_f16 v28, v123, v121
	v_dot2c_f32_f16 v55, v124, v119
	v_dot2c_f32_f16 v35, v124, v120
	v_dot2c_f32_f16 v34, v124, v121
	v_dot2c_f32_f16 v61, v125, v119
	v_dot2c_f32_f16 v36, v125, v120
	v_dot2c_f32_f16 v37, v125, v121
	ds_read_b128 v[119:122], v88 offset:7936
	s_waitcnt vmcnt(7)
	v_cndmask_b32_e64 v5, 0, v5, s2
	v_cndmask_b32_e64 v4, 0, v4, s2
	;; [unrolled: 1-line block ×4, first 2 shown]
	s_waitcnt vmcnt(6)
	v_cndmask_b32_e64 v1, 0, v1, s1
	v_cndmask_b32_e64 v0, 0, v0, s1
	;; [unrolled: 1-line block ×4, first 2 shown]
	ds_write2st64_b32 v97, v4, v5 offset0:96 offset1:98
	ds_write2st64_b32 v97, v6, v7 offset0:100 offset1:102
	;; [unrolled: 1-line block ×4, first 2 shown]
	s_waitcnt vmcnt(5)
	v_cndmask_b32_e64 v0, 0, v11, s9
	v_cndmask_b32_e64 v1, 0, v10, s9
	;; [unrolled: 1-line block ×4, first 2 shown]
	s_waitcnt vmcnt(4)
	v_cndmask_b32_e64 v10, 0, v13, s10
	v_cndmask_b32_e64 v11, 0, v12, s10
	;; [unrolled: 1-line block ×4, first 2 shown]
	s_waitcnt lgkmcnt(6)
	v_dot2c_f32_f16 v87, v126, v134
	v_dot2c_f32_f16 v86, v126, v135
	v_dot2c_f32_f16 v60, v126, v136
	v_dot2c_f32_f16 v59, v126, v137
	v_dot2c_f32_f16 v83, v127, v134
	v_dot2c_f32_f16 v82, v127, v135
	v_dot2c_f32_f16 v49, v127, v136
	v_dot2c_f32_f16 v48, v127, v137
	v_dot2c_f32_f16 v79, v128, v134
	v_dot2c_f32_f16 v78, v128, v135
	v_dot2c_f32_f16 v47, v128, v136
	v_dot2c_f32_f16 v46, v128, v137
	v_dot2c_f32_f16 v75, v129, v134
	v_dot2c_f32_f16 v74, v129, v135
	v_dot2c_f32_f16 v41, v129, v136
	v_dot2c_f32_f16 v40, v129, v137
	s_waitcnt lgkmcnt(5)
	v_dot2c_f32_f16 v85, v126, v138
	v_dot2c_f32_f16 v84, v126, v139
	v_dot2c_f32_f16 v53, v126, v140
	v_dot2c_f32_f16 v52, v126, v141
	v_dot2c_f32_f16 v81, v127, v138
	v_dot2c_f32_f16 v80, v127, v139
	v_dot2c_f32_f16 v50, v127, v140
	v_dot2c_f32_f16 v51, v127, v141
	v_dot2c_f32_f16 v77, v128, v138
	v_dot2c_f32_f16 v76, v128, v139
	v_dot2c_f32_f16 v44, v128, v140
	v_dot2c_f32_f16 v45, v128, v141
	v_dot2c_f32_f16 v73, v129, v138
	v_dot2c_f32_f16 v72, v129, v139
	v_dot2c_f32_f16 v42, v129, v140
	v_dot2c_f32_f16 v43, v129, v141
	;; [unrolled: 17-line block ×3, first 2 shown]
	v_dot2c_f32_f16 v69, v119, v138
	v_dot2c_f32_f16 v68, v119, v139
	;; [unrolled: 1-line block ×16, first 2 shown]
	ds_write2st64_b32 v97, v3, v2 offset0:32 offset1:34
	ds_write2st64_b32 v97, v1, v0 offset0:36 offset1:38
	s_waitcnt vmcnt(2)
	v_cndmask_b32_e64 v2, 0, v133, s12
	v_cndmask_b32_e64 v3, 0, v132, s12
	;; [unrolled: 1-line block ×4, first 2 shown]
	ds_write2st64_b32 v97, v11, v10 offset0:40 offset1:42
	ds_write2st64_b32 v97, v9, v8 offset0:44 offset1:46
	s_waitcnt lgkmcnt(0)
	s_barrier
	ds_read_b128 v[8:11], v88 offset:8192
	ds_read_b128 v[12:15], v89 offset:24576
	;; [unrolled: 1-line block ×7, first 2 shown]
	s_and_b32 s6, s7, s8
	s_and_b32 s3, s14, s78
	;; [unrolled: 1-line block ×3, first 2 shown]
	v_cndmask_b32_e64 v5, 0, v142, s11
	s_and_b32 s7, s13, s6
	s_and_b32 s6, s0, s3
	v_cndmask_b32_e64 v0, 0, v145, s11
	v_cndmask_b32_e64 v1, 0, v144, s11
	;; [unrolled: 1-line block ×3, first 2 shown]
	v_add_nc_u32_e32 v114, s58, v114
	v_add_nc_u32_e32 v113, s61, v113
	;; [unrolled: 1-line block ×5, first 2 shown]
	s_waitcnt lgkmcnt(5)
	v_dot2c_f32_f16 v87, v8, v12
	v_dot2c_f32_f16 v86, v8, v13
	;; [unrolled: 1-line block ×16, first 2 shown]
	s_waitcnt lgkmcnt(4)
	v_dot2c_f32_f16 v85, v8, v119
	v_dot2c_f32_f16 v84, v8, v120
	;; [unrolled: 1-line block ×16, first 2 shown]
	ds_read_b128 v[8:11], v88 offset:8960
	s_waitcnt lgkmcnt(4)
	v_dot2c_f32_f16 v71, v123, v12
	v_dot2c_f32_f16 v70, v123, v13
	;; [unrolled: 1-line block ×16, first 2 shown]
	ds_read_b128 v[12:15], v88 offset:9216
	v_dot2c_f32_f16 v69, v123, v119
	v_dot2c_f32_f16 v68, v123, v120
	;; [unrolled: 1-line block ×16, first 2 shown]
	ds_read_b128 v[119:122], v89 offset:25600
	ds_read_b128 v[123:126], v89 offset:25856
	s_waitcnt lgkmcnt(5)
	v_dot2c_f32_f16 v87, v127, v131
	v_dot2c_f32_f16 v86, v127, v132
	;; [unrolled: 1-line block ×16, first 2 shown]
	s_waitcnt lgkmcnt(4)
	v_dot2c_f32_f16 v85, v127, v135
	v_dot2c_f32_f16 v84, v127, v136
	;; [unrolled: 1-line block ×16, first 2 shown]
	ds_read_b128 v[127:130], v88 offset:9472
	s_waitcnt lgkmcnt(4)
	v_dot2c_f32_f16 v71, v8, v131
	v_dot2c_f32_f16 v70, v8, v132
	;; [unrolled: 1-line block ×16, first 2 shown]
	ds_read_b128 v[131:134], v88 offset:9728
	v_dot2c_f32_f16 v69, v8, v135
	v_dot2c_f32_f16 v68, v8, v136
	;; [unrolled: 1-line block ×16, first 2 shown]
	ds_read_b128 v[8:11], v89 offset:26112
	ds_read_b128 v[135:138], v89 offset:26368
	s_waitcnt lgkmcnt(5)
	v_dot2c_f32_f16 v87, v12, v119
	v_dot2c_f32_f16 v86, v12, v120
	;; [unrolled: 1-line block ×16, first 2 shown]
	s_waitcnt lgkmcnt(4)
	v_dot2c_f32_f16 v85, v12, v123
	v_dot2c_f32_f16 v84, v12, v124
	v_dot2c_f32_f16 v53, v12, v125
	v_dot2c_f32_f16 v52, v12, v126
	v_dot2c_f32_f16 v81, v13, v123
	v_dot2c_f32_f16 v80, v13, v124
	v_dot2c_f32_f16 v50, v13, v125
	v_dot2c_f32_f16 v51, v13, v126
	v_dot2c_f32_f16 v77, v14, v123
	v_dot2c_f32_f16 v76, v14, v124
	v_dot2c_f32_f16 v44, v14, v125
	v_dot2c_f32_f16 v45, v14, v126
	v_dot2c_f32_f16 v73, v15, v123
	v_dot2c_f32_f16 v72, v15, v124
	v_dot2c_f32_f16 v42, v15, v125
	v_dot2c_f32_f16 v43, v15, v126
	ds_read_b128 v[12:15], v88 offset:9984
	s_waitcnt lgkmcnt(4)
	v_dot2c_f32_f16 v71, v127, v119
	v_dot2c_f32_f16 v70, v127, v120
	;; [unrolled: 1-line block ×16, first 2 shown]
	ds_read_b128 v[119:122], v88 offset:10240
	v_dot2c_f32_f16 v69, v127, v123
	v_dot2c_f32_f16 v68, v127, v124
	;; [unrolled: 1-line block ×16, first 2 shown]
	ds_read_b128 v[123:126], v89 offset:26624
	ds_read_b128 v[127:130], v89 offset:26880
	s_waitcnt lgkmcnt(5)
	v_dot2c_f32_f16 v87, v131, v8
	v_dot2c_f32_f16 v86, v131, v9
	;; [unrolled: 1-line block ×16, first 2 shown]
	s_waitcnt lgkmcnt(4)
	v_dot2c_f32_f16 v85, v131, v135
	v_dot2c_f32_f16 v84, v131, v136
	;; [unrolled: 1-line block ×16, first 2 shown]
	ds_read_b128 v[131:134], v88 offset:10496
	s_waitcnt lgkmcnt(4)
	v_dot2c_f32_f16 v71, v12, v8
	v_dot2c_f32_f16 v70, v12, v9
	;; [unrolled: 1-line block ×16, first 2 shown]
	ds_read_b128 v[8:11], v88 offset:10752
	v_dot2c_f32_f16 v69, v12, v135
	v_dot2c_f32_f16 v68, v12, v136
	;; [unrolled: 1-line block ×16, first 2 shown]
	ds_read_b128 v[12:15], v89 offset:27136
	ds_read_b128 v[135:138], v89 offset:27392
	s_waitcnt lgkmcnt(5)
	v_dot2c_f32_f16 v87, v119, v123
	v_dot2c_f32_f16 v86, v119, v124
	;; [unrolled: 1-line block ×16, first 2 shown]
	s_waitcnt lgkmcnt(4)
	v_dot2c_f32_f16 v85, v119, v127
	v_dot2c_f32_f16 v84, v119, v128
	;; [unrolled: 1-line block ×16, first 2 shown]
	ds_read_b128 v[119:122], v88 offset:11008
	s_waitcnt lgkmcnt(4)
	v_dot2c_f32_f16 v71, v131, v123
	v_dot2c_f32_f16 v70, v131, v124
	;; [unrolled: 1-line block ×16, first 2 shown]
	ds_read_b128 v[123:126], v88 offset:11264
	v_dot2c_f32_f16 v69, v131, v127
	v_dot2c_f32_f16 v68, v131, v128
	;; [unrolled: 1-line block ×16, first 2 shown]
	ds_read_b128 v[127:130], v89 offset:27648
	ds_read_b128 v[131:134], v89 offset:27904
	s_waitcnt lgkmcnt(5)
	v_dot2c_f32_f16 v87, v8, v12
	v_dot2c_f32_f16 v86, v8, v13
	;; [unrolled: 1-line block ×16, first 2 shown]
	s_waitcnt lgkmcnt(4)
	v_dot2c_f32_f16 v85, v8, v135
	v_dot2c_f32_f16 v84, v8, v136
	v_dot2c_f32_f16 v53, v8, v137
	v_dot2c_f32_f16 v52, v8, v138
	v_dot2c_f32_f16 v81, v9, v135
	v_dot2c_f32_f16 v80, v9, v136
	v_dot2c_f32_f16 v50, v9, v137
	v_dot2c_f32_f16 v51, v9, v138
	v_dot2c_f32_f16 v77, v10, v135
	v_dot2c_f32_f16 v76, v10, v136
	v_dot2c_f32_f16 v44, v10, v137
	v_dot2c_f32_f16 v45, v10, v138
	v_dot2c_f32_f16 v73, v11, v135
	v_dot2c_f32_f16 v72, v11, v136
	v_dot2c_f32_f16 v42, v11, v137
	v_dot2c_f32_f16 v43, v11, v138
	ds_read_b128 v[8:11], v88 offset:11520
	s_waitcnt lgkmcnt(4)
	v_dot2c_f32_f16 v71, v119, v12
	v_dot2c_f32_f16 v70, v119, v13
	;; [unrolled: 1-line block ×16, first 2 shown]
	ds_read_b128 v[12:15], v88 offset:11776
	v_dot2c_f32_f16 v69, v119, v135
	v_dot2c_f32_f16 v68, v119, v136
	;; [unrolled: 1-line block ×16, first 2 shown]
	ds_read_b128 v[119:122], v89 offset:28160
	ds_read_b128 v[135:138], v89 offset:28416
	s_waitcnt lgkmcnt(5)
	v_dot2c_f32_f16 v87, v123, v127
	v_dot2c_f32_f16 v86, v123, v128
	;; [unrolled: 1-line block ×16, first 2 shown]
	s_waitcnt lgkmcnt(4)
	v_dot2c_f32_f16 v85, v123, v131
	v_dot2c_f32_f16 v84, v123, v132
	;; [unrolled: 1-line block ×16, first 2 shown]
	ds_read_b128 v[123:126], v88 offset:12032
	s_waitcnt lgkmcnt(4)
	v_dot2c_f32_f16 v71, v8, v127
	v_dot2c_f32_f16 v70, v8, v128
	;; [unrolled: 1-line block ×16, first 2 shown]
	ds_read_b128 v[127:130], v88 offset:12288
	v_dot2c_f32_f16 v69, v8, v131
	v_dot2c_f32_f16 v68, v8, v132
	;; [unrolled: 1-line block ×16, first 2 shown]
	ds_read_b128 v[8:11], v89 offset:28672
	ds_read_b128 v[131:134], v89 offset:28928
	s_waitcnt lgkmcnt(5)
	v_dot2c_f32_f16 v87, v12, v119
	v_dot2c_f32_f16 v86, v12, v120
	;; [unrolled: 1-line block ×16, first 2 shown]
	s_waitcnt lgkmcnt(4)
	v_dot2c_f32_f16 v85, v12, v135
	v_dot2c_f32_f16 v84, v12, v136
	;; [unrolled: 1-line block ×16, first 2 shown]
	ds_read_b128 v[12:15], v88 offset:12544
	s_waitcnt lgkmcnt(4)
	v_dot2c_f32_f16 v71, v123, v119
	v_dot2c_f32_f16 v70, v123, v120
	;; [unrolled: 1-line block ×16, first 2 shown]
	ds_read_b128 v[119:122], v88 offset:12800
	v_dot2c_f32_f16 v69, v123, v135
	v_dot2c_f32_f16 v68, v123, v136
	v_dot2c_f32_f16 v27, v123, v137
	v_dot2c_f32_f16 v26, v123, v138
	v_dot2c_f32_f16 v64, v124, v135
	v_dot2c_f32_f16 v62, v124, v136
	v_dot2c_f32_f16 v29, v124, v137
	v_dot2c_f32_f16 v28, v124, v138
	v_dot2c_f32_f16 v56, v125, v135
	v_dot2c_f32_f16 v55, v125, v136
	v_dot2c_f32_f16 v35, v125, v137
	v_dot2c_f32_f16 v34, v125, v138
	v_dot2c_f32_f16 v63, v126, v135
	v_dot2c_f32_f16 v61, v126, v136
	v_dot2c_f32_f16 v36, v126, v137
	v_dot2c_f32_f16 v37, v126, v138
	ds_read_b128 v[123:126], v89 offset:29184
	ds_read_b128 v[135:138], v89 offset:29440
	s_waitcnt lgkmcnt(5)
	v_dot2c_f32_f16 v87, v127, v8
	v_dot2c_f32_f16 v86, v127, v9
	;; [unrolled: 1-line block ×16, first 2 shown]
	s_waitcnt lgkmcnt(4)
	v_dot2c_f32_f16 v85, v127, v131
	v_dot2c_f32_f16 v84, v127, v132
	;; [unrolled: 1-line block ×16, first 2 shown]
	ds_read_b128 v[127:130], v88 offset:13056
	s_waitcnt lgkmcnt(4)
	v_dot2c_f32_f16 v71, v12, v8
	v_dot2c_f32_f16 v70, v12, v9
	;; [unrolled: 1-line block ×16, first 2 shown]
	ds_read_b128 v[8:11], v88 offset:13312
	v_dot2c_f32_f16 v69, v12, v131
	v_dot2c_f32_f16 v68, v12, v132
	;; [unrolled: 1-line block ×16, first 2 shown]
	ds_read_b128 v[12:15], v89 offset:29696
	ds_read_b128 v[131:134], v89 offset:29952
	s_waitcnt lgkmcnt(5)
	v_dot2c_f32_f16 v87, v119, v123
	v_dot2c_f32_f16 v86, v119, v124
	;; [unrolled: 1-line block ×16, first 2 shown]
	s_waitcnt lgkmcnt(4)
	v_dot2c_f32_f16 v85, v119, v135
	v_dot2c_f32_f16 v84, v119, v136
	;; [unrolled: 1-line block ×16, first 2 shown]
	ds_read_b128 v[119:122], v88 offset:13568
	s_waitcnt lgkmcnt(4)
	v_dot2c_f32_f16 v71, v127, v123
	v_dot2c_f32_f16 v70, v127, v124
	;; [unrolled: 1-line block ×16, first 2 shown]
	ds_read_b128 v[123:126], v88 offset:13824
	v_dot2c_f32_f16 v69, v127, v135
	v_dot2c_f32_f16 v68, v127, v136
	;; [unrolled: 1-line block ×16, first 2 shown]
	ds_read_b128 v[127:130], v89 offset:30208
	ds_read_b128 v[135:138], v89 offset:30464
	s_waitcnt lgkmcnt(5)
	v_dot2c_f32_f16 v87, v8, v12
	v_dot2c_f32_f16 v86, v8, v13
	;; [unrolled: 1-line block ×16, first 2 shown]
	s_waitcnt lgkmcnt(4)
	v_dot2c_f32_f16 v85, v8, v131
	v_dot2c_f32_f16 v84, v8, v132
	;; [unrolled: 1-line block ×16, first 2 shown]
	ds_read_b128 v[8:11], v88 offset:14080
	s_waitcnt lgkmcnt(4)
	v_dot2c_f32_f16 v71, v119, v12
	v_dot2c_f32_f16 v70, v119, v13
	;; [unrolled: 1-line block ×16, first 2 shown]
	ds_read_b128 v[12:15], v88 offset:14336
	v_dot2c_f32_f16 v69, v119, v131
	v_dot2c_f32_f16 v68, v119, v132
	;; [unrolled: 1-line block ×16, first 2 shown]
	ds_read_b128 v[119:122], v89 offset:30720
	ds_read_b128 v[131:134], v89 offset:30976
	s_waitcnt lgkmcnt(5)
	v_dot2c_f32_f16 v87, v123, v127
	v_dot2c_f32_f16 v86, v123, v128
	;; [unrolled: 1-line block ×16, first 2 shown]
	s_waitcnt lgkmcnt(4)
	v_dot2c_f32_f16 v85, v123, v135
	v_dot2c_f32_f16 v84, v123, v136
	;; [unrolled: 1-line block ×16, first 2 shown]
	ds_read_b128 v[123:126], v88 offset:14592
	s_waitcnt lgkmcnt(4)
	v_dot2c_f32_f16 v71, v8, v127
	v_dot2c_f32_f16 v70, v8, v128
	;; [unrolled: 1-line block ×16, first 2 shown]
	ds_read_b128 v[127:130], v88 offset:14848
	v_dot2c_f32_f16 v69, v8, v135
	v_dot2c_f32_f16 v68, v8, v136
	;; [unrolled: 1-line block ×16, first 2 shown]
	ds_read_b128 v[8:11], v89 offset:31232
	ds_read_b128 v[135:138], v89 offset:31488
	s_waitcnt lgkmcnt(5)
	v_dot2c_f32_f16 v87, v12, v119
	v_dot2c_f32_f16 v86, v12, v120
	;; [unrolled: 1-line block ×16, first 2 shown]
	s_waitcnt lgkmcnt(4)
	v_dot2c_f32_f16 v85, v12, v131
	v_dot2c_f32_f16 v84, v12, v132
	;; [unrolled: 1-line block ×16, first 2 shown]
	ds_read_b128 v[12:15], v88 offset:15104
	s_waitcnt lgkmcnt(4)
	v_dot2c_f32_f16 v71, v123, v119
	v_dot2c_f32_f16 v70, v123, v120
	;; [unrolled: 1-line block ×32, first 2 shown]
	ds_read_b128 v[119:122], v89 offset:31744
	ds_read_b128 v[123:126], v89 offset:32000
	;; [unrolled: 1-line block ×3, first 2 shown]
	s_waitcnt vmcnt(1)
	v_cndmask_b32_e64 v139, 0, v23, s6
	v_cndmask_b32_e64 v140, 0, v22, s6
	;; [unrolled: 1-line block ×4, first 2 shown]
	s_waitcnt lgkmcnt(5)
	v_dot2c_f32_f16 v87, v127, v8
	v_dot2c_f32_f16 v86, v127, v9
	;; [unrolled: 1-line block ×16, first 2 shown]
	s_waitcnt lgkmcnt(4)
	v_dot2c_f32_f16 v85, v127, v135
	v_dot2c_f32_f16 v84, v127, v136
	v_dot2c_f32_f16 v53, v127, v137
	v_dot2c_f32_f16 v52, v127, v138
	v_dot2c_f32_f16 v81, v128, v135
	v_dot2c_f32_f16 v80, v128, v136
	v_dot2c_f32_f16 v50, v128, v137
	v_dot2c_f32_f16 v51, v128, v138
	v_dot2c_f32_f16 v77, v129, v135
	v_dot2c_f32_f16 v76, v129, v136
	v_dot2c_f32_f16 v44, v129, v137
	v_dot2c_f32_f16 v45, v129, v138
	v_dot2c_f32_f16 v73, v130, v135
	v_dot2c_f32_f16 v72, v130, v136
	v_dot2c_f32_f16 v42, v130, v137
	v_dot2c_f32_f16 v43, v130, v138
	ds_read_b128 v[20:23], v89 offset:32256
	s_waitcnt lgkmcnt(4)
	v_dot2c_f32_f16 v71, v12, v8
	v_dot2c_f32_f16 v70, v12, v9
	v_dot2c_f32_f16 v25, v12, v10
	v_dot2c_f32_f16 v24, v12, v11
	v_dot2c_f32_f16 v66, v13, v8
	v_dot2c_f32_f16 v65, v13, v9
	v_dot2c_f32_f16 v31, v13, v10
	v_dot2c_f32_f16 v30, v13, v11
	v_dot2c_f32_f16 v58, v14, v8
	v_dot2c_f32_f16 v57, v14, v9
	v_dot2c_f32_f16 v33, v14, v10
	v_dot2c_f32_f16 v32, v14, v11
	v_dot2c_f32_f16 v54, v15, v8
	v_dot2c_f32_f16 v67, v15, v9
	v_dot2c_f32_f16 v39, v15, v10
	v_dot2c_f32_f16 v38, v15, v11
	ds_read_b128 v[8:11], v89 offset:32512
	v_dot2c_f32_f16 v69, v12, v135
	v_dot2c_f32_f16 v68, v12, v136
	;; [unrolled: 1-line block ×16, first 2 shown]
	ds_read_b128 v[12:15], v88 offset:15872
	ds_read_b128 v[127:130], v88 offset:16128
	;; [unrolled: 1-line block ×3, first 2 shown]
	s_waitcnt lgkmcnt(5)
	v_dot2c_f32_f16 v71, v131, v119
	v_dot2c_f32_f16 v70, v131, v120
	;; [unrolled: 1-line block ×19, first 2 shown]
	s_waitcnt lgkmcnt(0)
	v_dot2c_f32_f16 v87, v135, v119
	v_dot2c_f32_f16 v86, v135, v120
	;; [unrolled: 1-line block ×45, first 2 shown]
	s_and_b32 s3, s0, s7
	v_dot2c_f32_f16 v87, v12, v20
	v_dot2c_f32_f16 v86, v12, v21
	;; [unrolled: 1-line block ×64, first 2 shown]
	s_add_i32 s59, s59, 32
	s_add_i32 s57, s57, s54
	;; [unrolled: 1-line block ×3, first 2 shown]
	ds_write2st64_b32 v97, v5, v4 offset0:64 offset1:66
	ds_write2st64_b32 v97, v1, v0 offset0:68 offset1:70
	;; [unrolled: 1-line block ×4, first 2 shown]
	s_waitcnt vmcnt(0)
	v_cndmask_b32_e64 v2, 0, v17, s3
	v_cndmask_b32_e64 v3, 0, v16, s3
	s_cmp_lt_i32 s59, s50
	v_cndmask_b32_e64 v0, 0, v19, s3
	v_cndmask_b32_e64 v1, 0, v18, s3
	ds_write2st64_b32 v97, v142, v141 offset1:2
	ds_write2st64_b32 v97, v140, v139 offset0:4 offset1:6
	ds_write2st64_b32 v97, v3, v2 offset0:8 offset1:10
	;; [unrolled: 1-line block ×3, first 2 shown]
	s_cbranch_scc1 .LBB10_1
; %bb.2:
	s_waitcnt lgkmcnt(0)
	s_barrier
	buffer_gl0_inv
	ds_read_b128 v[0:3], v88
	ds_read_b128 v[4:7], v89 offset:16384
	ds_read_b128 v[8:11], v89 offset:16640
	;; [unrolled: 1-line block ×5, first 2 shown]
	s_mul_i32 s0, s18, s76
	s_mul_hi_u32 s1, s18, s75
	s_mul_i32 s3, s19, s75
	s_add_i32 s2, s1, s0
	s_load_dwordx2 s[0:1], s[4:5], 0x10
	s_add_i32 s3, s2, s3
	s_mul_i32 s2, s18, s75
	s_mul_hi_u32 s6, s16, s75
	s_lshl_b64 s[2:3], s[2:3], 1
	s_add_u32 s4, s66, s2
	s_mul_i32 s2, s16, s76
	s_addc_u32 s5, s67, s3
	s_add_i32 s2, s6, s2
	s_mul_i32 s3, s17, s75
	s_waitcnt lgkmcnt(0)
	v_dot2c_f32_f16 v87, v0, v4
	v_dot2c_f32_f16 v86, v0, v5
	;; [unrolled: 1-line block ×32, first 2 shown]
	ds_read_b128 v[0:3], v88 offset:512
	v_dot2c_f32_f16 v71, v12, v4
	v_dot2c_f32_f16 v70, v12, v5
	;; [unrolled: 1-line block ×30, first 2 shown]
	ds_read_b128 v[4:7], v89 offset:17152
	v_dot2c_f32_f16 v36, v15, v10
	v_dot2c_f32_f16 v37, v15, v11
	ds_read_b128 v[8:11], v88 offset:768
	s_waitcnt lgkmcnt(2)
	v_dot2c_f32_f16 v87, v0, v16
	v_dot2c_f32_f16 v86, v0, v17
	v_dot2c_f32_f16 v60, v0, v18
	v_dot2c_f32_f16 v59, v0, v19
	v_dot2c_f32_f16 v83, v1, v16
	v_dot2c_f32_f16 v82, v1, v17
	v_dot2c_f32_f16 v49, v1, v18
	v_dot2c_f32_f16 v48, v1, v19
	v_dot2c_f32_f16 v79, v2, v16
	v_dot2c_f32_f16 v78, v2, v17
	v_dot2c_f32_f16 v47, v2, v18
	v_dot2c_f32_f16 v46, v2, v19
	v_dot2c_f32_f16 v75, v3, v16
	v_dot2c_f32_f16 v74, v3, v17
	v_dot2c_f32_f16 v41, v3, v18
	v_dot2c_f32_f16 v40, v3, v19
	ds_read_b128 v[12:15], v89 offset:17408
	s_waitcnt lgkmcnt(2)
	v_dot2c_f32_f16 v85, v0, v4
	v_dot2c_f32_f16 v84, v0, v5
	v_dot2c_f32_f16 v53, v0, v6
	v_dot2c_f32_f16 v52, v0, v7
	v_dot2c_f32_f16 v81, v1, v4
	v_dot2c_f32_f16 v80, v1, v5
	v_dot2c_f32_f16 v50, v1, v6
	v_dot2c_f32_f16 v51, v1, v7
	v_dot2c_f32_f16 v77, v2, v4
	v_dot2c_f32_f16 v76, v2, v5
	v_dot2c_f32_f16 v44, v2, v6
	v_dot2c_f32_f16 v45, v2, v7
	v_dot2c_f32_f16 v73, v3, v4
	v_dot2c_f32_f16 v72, v3, v5
	;; [unrolled: 18-line block ×3, first 2 shown]
	v_dot2c_f32_f16 v39, v11, v18
	v_dot2c_f32_f16 v38, v11, v19
	;; [unrolled: 1-line block ×16, first 2 shown]
	ds_read_b128 v[16:19], v89 offset:17664
	v_dot2c_f32_f16 v36, v11, v6
	v_dot2c_f32_f16 v37, v11, v7
	ds_read_b128 v[4:7], v88 offset:1280
	s_waitcnt lgkmcnt(2)
	v_dot2c_f32_f16 v87, v0, v12
	v_dot2c_f32_f16 v86, v0, v13
	v_dot2c_f32_f16 v60, v0, v14
	v_dot2c_f32_f16 v59, v0, v15
	v_dot2c_f32_f16 v83, v1, v12
	v_dot2c_f32_f16 v82, v1, v13
	v_dot2c_f32_f16 v49, v1, v14
	v_dot2c_f32_f16 v48, v1, v15
	v_dot2c_f32_f16 v79, v2, v12
	v_dot2c_f32_f16 v78, v2, v13
	v_dot2c_f32_f16 v47, v2, v14
	v_dot2c_f32_f16 v46, v2, v15
	v_dot2c_f32_f16 v75, v3, v12
	v_dot2c_f32_f16 v74, v3, v13
	v_dot2c_f32_f16 v41, v3, v14
	v_dot2c_f32_f16 v40, v3, v15
	ds_read_b128 v[8:11], v89 offset:17920
	s_waitcnt lgkmcnt(2)
	v_dot2c_f32_f16 v85, v0, v16
	v_dot2c_f32_f16 v84, v0, v17
	v_dot2c_f32_f16 v53, v0, v18
	v_dot2c_f32_f16 v52, v0, v19
	v_dot2c_f32_f16 v81, v1, v16
	v_dot2c_f32_f16 v80, v1, v17
	v_dot2c_f32_f16 v50, v1, v18
	v_dot2c_f32_f16 v51, v1, v19
	v_dot2c_f32_f16 v77, v2, v16
	v_dot2c_f32_f16 v76, v2, v17
	v_dot2c_f32_f16 v44, v2, v18
	v_dot2c_f32_f16 v45, v2, v19
	v_dot2c_f32_f16 v73, v3, v16
	v_dot2c_f32_f16 v72, v3, v17
	;; [unrolled: 18-line block ×3, first 2 shown]
	v_dot2c_f32_f16 v39, v7, v14
	v_dot2c_f32_f16 v38, v7, v15
	;; [unrolled: 1-line block ×16, first 2 shown]
	ds_read_b128 v[12:15], v89 offset:18176
	v_dot2c_f32_f16 v36, v7, v18
	v_dot2c_f32_f16 v37, v7, v19
	ds_read_b128 v[4:7], v88 offset:1792
	s_waitcnt lgkmcnt(2)
	v_dot2c_f32_f16 v87, v0, v8
	v_dot2c_f32_f16 v86, v0, v9
	v_dot2c_f32_f16 v60, v0, v10
	v_dot2c_f32_f16 v59, v0, v11
	v_dot2c_f32_f16 v83, v1, v8
	v_dot2c_f32_f16 v82, v1, v9
	v_dot2c_f32_f16 v49, v1, v10
	v_dot2c_f32_f16 v48, v1, v11
	v_dot2c_f32_f16 v79, v2, v8
	v_dot2c_f32_f16 v78, v2, v9
	v_dot2c_f32_f16 v47, v2, v10
	v_dot2c_f32_f16 v46, v2, v11
	v_dot2c_f32_f16 v75, v3, v8
	v_dot2c_f32_f16 v74, v3, v9
	v_dot2c_f32_f16 v41, v3, v10
	v_dot2c_f32_f16 v40, v3, v11
	ds_read_b128 v[16:19], v89 offset:18432
	s_waitcnt lgkmcnt(2)
	v_dot2c_f32_f16 v85, v0, v12
	v_dot2c_f32_f16 v84, v0, v13
	v_dot2c_f32_f16 v53, v0, v14
	v_dot2c_f32_f16 v52, v0, v15
	v_dot2c_f32_f16 v81, v1, v12
	v_dot2c_f32_f16 v80, v1, v13
	v_dot2c_f32_f16 v50, v1, v14
	v_dot2c_f32_f16 v51, v1, v15
	v_dot2c_f32_f16 v77, v2, v12
	v_dot2c_f32_f16 v76, v2, v13
	v_dot2c_f32_f16 v44, v2, v14
	v_dot2c_f32_f16 v45, v2, v15
	v_dot2c_f32_f16 v73, v3, v12
	v_dot2c_f32_f16 v72, v3, v13
	;; [unrolled: 18-line block ×3, first 2 shown]
	v_dot2c_f32_f16 v39, v7, v10
	v_dot2c_f32_f16 v38, v7, v11
	;; [unrolled: 1-line block ×16, first 2 shown]
	ds_read_b128 v[8:11], v89 offset:18688
	v_dot2c_f32_f16 v36, v7, v14
	v_dot2c_f32_f16 v37, v7, v15
	ds_read_b128 v[4:7], v88 offset:2304
	s_waitcnt lgkmcnt(2)
	v_dot2c_f32_f16 v87, v0, v16
	v_dot2c_f32_f16 v86, v0, v17
	v_dot2c_f32_f16 v60, v0, v18
	v_dot2c_f32_f16 v59, v0, v19
	v_dot2c_f32_f16 v83, v1, v16
	v_dot2c_f32_f16 v82, v1, v17
	v_dot2c_f32_f16 v49, v1, v18
	v_dot2c_f32_f16 v48, v1, v19
	v_dot2c_f32_f16 v79, v2, v16
	v_dot2c_f32_f16 v78, v2, v17
	v_dot2c_f32_f16 v47, v2, v18
	v_dot2c_f32_f16 v46, v2, v19
	v_dot2c_f32_f16 v75, v3, v16
	v_dot2c_f32_f16 v74, v3, v17
	v_dot2c_f32_f16 v41, v3, v18
	v_dot2c_f32_f16 v40, v3, v19
	ds_read_b128 v[12:15], v89 offset:18944
	s_waitcnt lgkmcnt(2)
	v_dot2c_f32_f16 v85, v0, v8
	v_dot2c_f32_f16 v84, v0, v9
	v_dot2c_f32_f16 v53, v0, v10
	v_dot2c_f32_f16 v52, v0, v11
	v_dot2c_f32_f16 v81, v1, v8
	v_dot2c_f32_f16 v80, v1, v9
	v_dot2c_f32_f16 v50, v1, v10
	v_dot2c_f32_f16 v51, v1, v11
	v_dot2c_f32_f16 v77, v2, v8
	v_dot2c_f32_f16 v76, v2, v9
	v_dot2c_f32_f16 v44, v2, v10
	v_dot2c_f32_f16 v45, v2, v11
	v_dot2c_f32_f16 v73, v3, v8
	v_dot2c_f32_f16 v72, v3, v9
	;; [unrolled: 18-line block ×3, first 2 shown]
	v_dot2c_f32_f16 v39, v7, v18
	v_dot2c_f32_f16 v38, v7, v19
	;; [unrolled: 1-line block ×16, first 2 shown]
	ds_read_b128 v[16:19], v89 offset:19200
	v_dot2c_f32_f16 v36, v7, v10
	v_dot2c_f32_f16 v37, v7, v11
	ds_read_b128 v[4:7], v88 offset:2816
	s_waitcnt lgkmcnt(2)
	v_dot2c_f32_f16 v87, v0, v12
	v_dot2c_f32_f16 v86, v0, v13
	v_dot2c_f32_f16 v60, v0, v14
	v_dot2c_f32_f16 v59, v0, v15
	v_dot2c_f32_f16 v83, v1, v12
	v_dot2c_f32_f16 v82, v1, v13
	v_dot2c_f32_f16 v49, v1, v14
	v_dot2c_f32_f16 v48, v1, v15
	v_dot2c_f32_f16 v79, v2, v12
	v_dot2c_f32_f16 v78, v2, v13
	v_dot2c_f32_f16 v47, v2, v14
	v_dot2c_f32_f16 v46, v2, v15
	v_dot2c_f32_f16 v75, v3, v12
	v_dot2c_f32_f16 v74, v3, v13
	v_dot2c_f32_f16 v41, v3, v14
	v_dot2c_f32_f16 v40, v3, v15
	ds_read_b128 v[8:11], v89 offset:19456
	s_waitcnt lgkmcnt(2)
	v_dot2c_f32_f16 v85, v0, v16
	v_dot2c_f32_f16 v84, v0, v17
	v_dot2c_f32_f16 v53, v0, v18
	v_dot2c_f32_f16 v52, v0, v19
	v_dot2c_f32_f16 v81, v1, v16
	v_dot2c_f32_f16 v80, v1, v17
	v_dot2c_f32_f16 v50, v1, v18
	v_dot2c_f32_f16 v51, v1, v19
	v_dot2c_f32_f16 v77, v2, v16
	v_dot2c_f32_f16 v76, v2, v17
	v_dot2c_f32_f16 v44, v2, v18
	v_dot2c_f32_f16 v45, v2, v19
	v_dot2c_f32_f16 v73, v3, v16
	v_dot2c_f32_f16 v72, v3, v17
	;; [unrolled: 18-line block ×3, first 2 shown]
	v_dot2c_f32_f16 v39, v7, v14
	v_dot2c_f32_f16 v38, v7, v15
	;; [unrolled: 1-line block ×16, first 2 shown]
	ds_read_b128 v[12:15], v89 offset:19712
	v_dot2c_f32_f16 v36, v7, v18
	v_dot2c_f32_f16 v37, v7, v19
	ds_read_b128 v[4:7], v88 offset:3328
	s_waitcnt lgkmcnt(2)
	v_dot2c_f32_f16 v87, v0, v8
	v_dot2c_f32_f16 v86, v0, v9
	v_dot2c_f32_f16 v60, v0, v10
	v_dot2c_f32_f16 v59, v0, v11
	v_dot2c_f32_f16 v83, v1, v8
	v_dot2c_f32_f16 v82, v1, v9
	v_dot2c_f32_f16 v49, v1, v10
	v_dot2c_f32_f16 v48, v1, v11
	v_dot2c_f32_f16 v79, v2, v8
	v_dot2c_f32_f16 v78, v2, v9
	v_dot2c_f32_f16 v47, v2, v10
	v_dot2c_f32_f16 v46, v2, v11
	v_dot2c_f32_f16 v75, v3, v8
	v_dot2c_f32_f16 v74, v3, v9
	v_dot2c_f32_f16 v41, v3, v10
	v_dot2c_f32_f16 v40, v3, v11
	ds_read_b128 v[16:19], v89 offset:19968
	s_waitcnt lgkmcnt(2)
	v_dot2c_f32_f16 v85, v0, v12
	v_dot2c_f32_f16 v84, v0, v13
	v_dot2c_f32_f16 v53, v0, v14
	v_dot2c_f32_f16 v52, v0, v15
	v_dot2c_f32_f16 v81, v1, v12
	v_dot2c_f32_f16 v80, v1, v13
	v_dot2c_f32_f16 v50, v1, v14
	v_dot2c_f32_f16 v51, v1, v15
	v_dot2c_f32_f16 v77, v2, v12
	v_dot2c_f32_f16 v76, v2, v13
	v_dot2c_f32_f16 v44, v2, v14
	v_dot2c_f32_f16 v45, v2, v15
	v_dot2c_f32_f16 v73, v3, v12
	v_dot2c_f32_f16 v72, v3, v13
	;; [unrolled: 18-line block ×3, first 2 shown]
	v_dot2c_f32_f16 v39, v7, v10
	v_dot2c_f32_f16 v38, v7, v11
	;; [unrolled: 1-line block ×16, first 2 shown]
	ds_read_b128 v[8:11], v89 offset:20224
	v_dot2c_f32_f16 v36, v7, v14
	v_dot2c_f32_f16 v37, v7, v15
	ds_read_b128 v[4:7], v88 offset:3840
	s_waitcnt lgkmcnt(2)
	v_dot2c_f32_f16 v87, v0, v16
	v_dot2c_f32_f16 v86, v0, v17
	v_dot2c_f32_f16 v60, v0, v18
	v_dot2c_f32_f16 v59, v0, v19
	v_dot2c_f32_f16 v83, v1, v16
	v_dot2c_f32_f16 v82, v1, v17
	v_dot2c_f32_f16 v49, v1, v18
	v_dot2c_f32_f16 v48, v1, v19
	v_dot2c_f32_f16 v79, v2, v16
	v_dot2c_f32_f16 v78, v2, v17
	v_dot2c_f32_f16 v47, v2, v18
	v_dot2c_f32_f16 v46, v2, v19
	v_dot2c_f32_f16 v75, v3, v16
	v_dot2c_f32_f16 v74, v3, v17
	v_dot2c_f32_f16 v41, v3, v18
	v_dot2c_f32_f16 v40, v3, v19
	ds_read_b128 v[12:15], v89 offset:20480
	s_waitcnt lgkmcnt(2)
	v_dot2c_f32_f16 v85, v0, v8
	v_dot2c_f32_f16 v84, v0, v9
	v_dot2c_f32_f16 v53, v0, v10
	v_dot2c_f32_f16 v52, v0, v11
	v_dot2c_f32_f16 v81, v1, v8
	v_dot2c_f32_f16 v80, v1, v9
	v_dot2c_f32_f16 v50, v1, v10
	v_dot2c_f32_f16 v51, v1, v11
	v_dot2c_f32_f16 v77, v2, v8
	v_dot2c_f32_f16 v76, v2, v9
	v_dot2c_f32_f16 v44, v2, v10
	v_dot2c_f32_f16 v45, v2, v11
	v_dot2c_f32_f16 v73, v3, v8
	v_dot2c_f32_f16 v72, v3, v9
	v_dot2c_f32_f16 v42, v3, v10
	v_dot2c_f32_f16 v43, v3, v11
	ds_read_b128 v[0:3], v88 offset:4096
	s_waitcnt lgkmcnt(2)
	v_dot2c_f32_f16 v71, v4, v16
	v_dot2c_f32_f16 v70, v4, v17
	v_dot2c_f32_f16 v25, v4, v18
	v_dot2c_f32_f16 v24, v4, v19
	v_dot2c_f32_f16 v66, v5, v16
	v_dot2c_f32_f16 v65, v5, v17
	v_dot2c_f32_f16 v31, v5, v18
	v_dot2c_f32_f16 v30, v5, v19
	v_dot2c_f32_f16 v58, v6, v16
	v_dot2c_f32_f16 v57, v6, v17
	v_dot2c_f32_f16 v33, v6, v18
	v_dot2c_f32_f16 v32, v6, v19
	v_dot2c_f32_f16 v54, v7, v16
	v_dot2c_f32_f16 v67, v7, v17
	v_dot2c_f32_f16 v39, v7, v18
	v_dot2c_f32_f16 v38, v7, v19
	;; [unrolled: 1-line block ×16, first 2 shown]
	ds_read_b128 v[16:19], v89 offset:20736
	v_dot2c_f32_f16 v36, v7, v10
	v_dot2c_f32_f16 v37, v7, v11
	ds_read_b128 v[4:7], v88 offset:4352
	s_waitcnt lgkmcnt(2)
	v_dot2c_f32_f16 v87, v0, v12
	v_dot2c_f32_f16 v86, v0, v13
	v_dot2c_f32_f16 v60, v0, v14
	v_dot2c_f32_f16 v59, v0, v15
	v_dot2c_f32_f16 v83, v1, v12
	v_dot2c_f32_f16 v82, v1, v13
	v_dot2c_f32_f16 v49, v1, v14
	v_dot2c_f32_f16 v48, v1, v15
	v_dot2c_f32_f16 v79, v2, v12
	v_dot2c_f32_f16 v78, v2, v13
	v_dot2c_f32_f16 v47, v2, v14
	v_dot2c_f32_f16 v46, v2, v15
	v_dot2c_f32_f16 v75, v3, v12
	v_dot2c_f32_f16 v74, v3, v13
	v_dot2c_f32_f16 v41, v3, v14
	v_dot2c_f32_f16 v40, v3, v15
	ds_read_b128 v[8:11], v89 offset:20992
	s_waitcnt lgkmcnt(2)
	v_dot2c_f32_f16 v85, v0, v16
	v_dot2c_f32_f16 v84, v0, v17
	v_dot2c_f32_f16 v53, v0, v18
	v_dot2c_f32_f16 v52, v0, v19
	v_dot2c_f32_f16 v81, v1, v16
	v_dot2c_f32_f16 v80, v1, v17
	v_dot2c_f32_f16 v50, v1, v18
	v_dot2c_f32_f16 v51, v1, v19
	v_dot2c_f32_f16 v77, v2, v16
	v_dot2c_f32_f16 v76, v2, v17
	v_dot2c_f32_f16 v44, v2, v18
	v_dot2c_f32_f16 v45, v2, v19
	v_dot2c_f32_f16 v73, v3, v16
	v_dot2c_f32_f16 v72, v3, v17
	;; [unrolled: 18-line block ×3, first 2 shown]
	v_dot2c_f32_f16 v39, v7, v14
	v_dot2c_f32_f16 v38, v7, v15
	;; [unrolled: 1-line block ×16, first 2 shown]
	ds_read_b128 v[12:15], v89 offset:21248
	v_dot2c_f32_f16 v36, v7, v18
	v_dot2c_f32_f16 v37, v7, v19
	ds_read_b128 v[4:7], v88 offset:4864
	s_waitcnt lgkmcnt(2)
	v_dot2c_f32_f16 v87, v0, v8
	v_dot2c_f32_f16 v86, v0, v9
	v_dot2c_f32_f16 v60, v0, v10
	v_dot2c_f32_f16 v59, v0, v11
	v_dot2c_f32_f16 v83, v1, v8
	v_dot2c_f32_f16 v82, v1, v9
	v_dot2c_f32_f16 v49, v1, v10
	v_dot2c_f32_f16 v48, v1, v11
	v_dot2c_f32_f16 v79, v2, v8
	v_dot2c_f32_f16 v78, v2, v9
	v_dot2c_f32_f16 v47, v2, v10
	v_dot2c_f32_f16 v46, v2, v11
	v_dot2c_f32_f16 v75, v3, v8
	v_dot2c_f32_f16 v74, v3, v9
	v_dot2c_f32_f16 v41, v3, v10
	v_dot2c_f32_f16 v40, v3, v11
	ds_read_b128 v[16:19], v89 offset:21504
	s_waitcnt lgkmcnt(2)
	v_dot2c_f32_f16 v85, v0, v12
	v_dot2c_f32_f16 v84, v0, v13
	v_dot2c_f32_f16 v53, v0, v14
	v_dot2c_f32_f16 v52, v0, v15
	v_dot2c_f32_f16 v81, v1, v12
	v_dot2c_f32_f16 v80, v1, v13
	v_dot2c_f32_f16 v50, v1, v14
	v_dot2c_f32_f16 v51, v1, v15
	v_dot2c_f32_f16 v77, v2, v12
	v_dot2c_f32_f16 v76, v2, v13
	v_dot2c_f32_f16 v44, v2, v14
	v_dot2c_f32_f16 v45, v2, v15
	v_dot2c_f32_f16 v73, v3, v12
	v_dot2c_f32_f16 v72, v3, v13
	;; [unrolled: 18-line block ×3, first 2 shown]
	v_dot2c_f32_f16 v39, v7, v10
	v_dot2c_f32_f16 v38, v7, v11
	ds_read_b128 v[8:11], v89 offset:21760
	v_dot2c_f32_f16 v69, v4, v12
	v_dot2c_f32_f16 v68, v4, v13
	;; [unrolled: 1-line block ×16, first 2 shown]
	s_waitcnt lgkmcnt(1)
	v_dot2c_f32_f16 v87, v0, v16
	v_dot2c_f32_f16 v86, v0, v17
	;; [unrolled: 1-line block ×16, first 2 shown]
	ds_read_b128 v[12:15], v89 offset:22016
	s_waitcnt lgkmcnt(1)
	v_dot2c_f32_f16 v85, v0, v8
	v_dot2c_f32_f16 v84, v0, v9
	;; [unrolled: 1-line block ×16, first 2 shown]
	ds_read_b128 v[0:3], v88 offset:5632
	v_dot2c_f32_f16 v71, v20, v16
	v_dot2c_f32_f16 v66, v21, v16
	;; [unrolled: 1-line block ×4, first 2 shown]
	v_lshl_or_b32 v16, s33, 7, v91
	v_dot2c_f32_f16 v69, v20, v8
	v_dot2c_f32_f16 v68, v20, v9
	;; [unrolled: 1-line block ×14, first 2 shown]
	ds_read_b128 v[4:7], v89 offset:22272
	v_dot2c_f32_f16 v36, v23, v10
	v_dot2c_f32_f16 v37, v23, v11
	ds_read_b128 v[8:11], v88 offset:5888
	v_dot2c_f32_f16 v25, v20, v18
	v_dot2c_f32_f16 v31, v21, v18
	;; [unrolled: 1-line block ×4, first 2 shown]
	v_mul_lo_u32 v18, v16, s62
	v_dot2c_f32_f16 v70, v20, v17
	v_dot2c_f32_f16 v65, v21, v17
	;; [unrolled: 1-line block ×4, first 2 shown]
	v_lshl_add_u32 v17, s47, 7, v90
	v_dot2c_f32_f16 v24, v20, v19
	v_dot2c_f32_f16 v30, v21, v19
	;; [unrolled: 1-line block ×4, first 2 shown]
	v_mad_u64_u32 v[18:19], null, v17, s63, v[18:19]
	s_add_i32 s3, s2, s3
	s_mul_i32 s2, s16, s75
	s_waitcnt lgkmcnt(2)
	v_dot2c_f32_f16 v87, v0, v12
	s_lshl_b64 s[2:3], s[2:3], 1
	v_dot2c_f32_f16 v86, v0, v13
	s_add_u32 s0, s0, s2
	v_dot2c_f32_f16 v60, v0, v14
	v_dot2c_f32_f16 v59, v0, v15
	;; [unrolled: 1-line block ×14, first 2 shown]
	s_waitcnt lgkmcnt(1)
	v_dot2c_f32_f16 v85, v0, v4
	v_dot2c_f32_f16 v84, v0, v5
	;; [unrolled: 1-line block ×16, first 2 shown]
	ds_read_b128 v[0:3], v88 offset:6144
	s_waitcnt lgkmcnt(1)
	v_dot2c_f32_f16 v71, v8, v12
	v_dot2c_f32_f16 v70, v8, v13
	;; [unrolled: 1-line block ×8, first 2 shown]
	v_lshlrev_b32_e32 v8, 1, v18
	s_addc_u32 s1, s1, s3
	s_lshl_b32 s2, s60, 1
	s_and_b32 s1, s1, 0xffff
	s_mov_b32 s3, 0x31014000
	s_lshl_b32 s6, s63, 6
	buffer_load_dwordx2 v[22:23], v8, s[0:3], 0 offen
	v_add_lshl_u32 v8, v18, s6, 1
	v_add_nc_u32_e32 v18, s62, v18
	v_dot2c_f32_f16 v66, v9, v12
	v_dot2c_f32_f16 v65, v9, v13
	;; [unrolled: 1-line block ×3, first 2 shown]
	buffer_load_dwordx2 v[90:91], v8, s[0:3], 0 offen
	v_lshlrev_b32_e32 v19, 1, v18
	v_dot2c_f32_f16 v30, v9, v15
	v_dot2c_f32_f16 v58, v10, v12
	;; [unrolled: 1-line block ×4, first 2 shown]
	buffer_load_dwordx2 v[92:93], v19, s[0:3], 0 offen
	v_dot2c_f32_f16 v32, v10, v15
	v_dot2c_f32_f16 v54, v11, v12
	;; [unrolled: 1-line block ×5, first 2 shown]
	ds_read_b128 v[12:15], v89 offset:22528
	v_dot2c_f32_f16 v64, v9, v4
	v_dot2c_f32_f16 v62, v9, v5
	;; [unrolled: 1-line block ×12, first 2 shown]
	ds_read_b128 v[4:7], v89 offset:22784
	v_add_lshl_u32 v20, v18, s6, 1
	v_add_nc_u32_e32 v18, s62, v18
	v_cmp_gt_i32_e32 vcc_lo, s28, v17
	s_and_b32 s5, s5, 0xffff
	s_mov_b32 s7, s3
	buffer_load_dwordx2 v[94:95], v20, s[0:3], 0 offen
	v_lshlrev_b32_e32 v19, 1, v18
	v_add_lshl_u32 v20, v18, s6, 1
	v_add_nc_u32_e32 v18, s62, v18
	s_waitcnt lgkmcnt(1)
	v_dot2c_f32_f16 v87, v0, v12
	v_dot2c_f32_f16 v86, v0, v13
	s_clause 0x1
	buffer_load_dwordx2 v[96:97], v19, s[0:3], 0 offen
	buffer_load_dwordx2 v[98:99], v20, s[0:3], 0 offen
	v_dot2c_f32_f16 v60, v0, v14
	v_dot2c_f32_f16 v59, v0, v15
	v_add_lshl_u32 v19, v18, s6, 1
	v_dot2c_f32_f16 v83, v1, v12
	v_dot2c_f32_f16 v82, v1, v13
	;; [unrolled: 1-line block ×3, first 2 shown]
	s_waitcnt lgkmcnt(0)
	v_dot2c_f32_f16 v85, v0, v4
	v_dot2c_f32_f16 v84, v0, v5
	;; [unrolled: 1-line block ×4, first 2 shown]
	v_lshlrev_b32_e32 v0, 1, v18
	buffer_load_dwordx2 v[102:103], v19, s[0:3], 0 offen
	v_mad_u64_u32 v[18:19], null, s62, 61, v[18:19]
	v_dot2c_f32_f16 v48, v1, v15
	buffer_load_dwordx2 v[100:101], v0, s[0:3], 0 offen
	ds_read_b128 v[8:11], v88 offset:6400
	v_dot2c_f32_f16 v79, v2, v12
	v_dot2c_f32_f16 v78, v2, v13
	;; [unrolled: 1-line block ×3, first 2 shown]
	v_lshlrev_b32_e32 v19, 1, v18
	v_add_lshl_u32 v20, v18, s6, 1
	v_add_nc_u32_e32 v18, s62, v18
	v_dot2c_f32_f16 v46, v2, v15
	v_dot2c_f32_f16 v75, v3, v12
	s_clause 0x1
	buffer_load_dwordx2 v[104:105], v19, s[0:3], 0 offen
	buffer_load_dwordx2 v[106:107], v20, s[0:3], 0 offen
	v_dot2c_f32_f16 v74, v3, v13
	v_dot2c_f32_f16 v41, v3, v14
	;; [unrolled: 1-line block ×15, first 2 shown]
	ds_read_b128 v[0:3], v88 offset:6656
	s_waitcnt lgkmcnt(1)
	v_dot2c_f32_f16 v71, v8, v12
	v_dot2c_f32_f16 v70, v8, v13
	;; [unrolled: 1-line block ×16, first 2 shown]
	v_lshlrev_b32_e32 v8, 1, v18
	v_add_lshl_u32 v9, v18, s6, 1
	v_dot2c_f32_f16 v58, v10, v12
	v_dot2c_f32_f16 v57, v10, v13
	;; [unrolled: 1-line block ×8, first 2 shown]
	ds_read_b128 v[12:15], v89 offset:23040
	v_dot2c_f32_f16 v56, v10, v4
	v_dot2c_f32_f16 v55, v10, v5
	;; [unrolled: 1-line block ×5, first 2 shown]
	s_clause 0x1
	buffer_load_dwordx2 v[108:109], v8, s[0:3], 0 offen
	buffer_load_dwordx2 v[110:111], v9, s[0:3], 0 offen
	v_dot2c_f32_f16 v61, v11, v5
	v_dot2c_f32_f16 v36, v11, v6
	;; [unrolled: 1-line block ×3, first 2 shown]
	ds_read_b128 v[4:7], v89 offset:23296
	ds_read_b128 v[8:11], v88 offset:6912
	v_add_nc_u32_e32 v18, s62, v18
	v_lshlrev_b32_e32 v19, 1, v18
	s_waitcnt lgkmcnt(2)
	v_dot2c_f32_f16 v87, v0, v12
	v_dot2c_f32_f16 v86, v0, v13
	buffer_load_dwordx2 v[112:113], v19, s[0:3], 0 offen
	v_add_lshl_u32 v19, v18, s6, 1
	v_add_nc_u32_e32 v18, s62, v18
	v_dot2c_f32_f16 v60, v0, v14
	v_dot2c_f32_f16 v59, v0, v15
	;; [unrolled: 1-line block ×3, first 2 shown]
	buffer_load_dwordx2 v[114:115], v19, s[0:3], 0 offen
	v_dot2c_f32_f16 v82, v1, v13
	s_waitcnt lgkmcnt(1)
	v_dot2c_f32_f16 v85, v0, v4
	v_dot2c_f32_f16 v84, v0, v5
	;; [unrolled: 1-line block ×4, first 2 shown]
	v_add_lshl_u32 v0, v18, s6, 1
	v_dot2c_f32_f16 v49, v1, v14
	v_dot2c_f32_f16 v48, v1, v15
	v_dot2c_f32_f16 v79, v2, v12
	v_dot2c_f32_f16 v78, v2, v13
	buffer_load_dwordx2 v[118:119], v0, s[0:3], 0 offen
	v_lshlrev_b32_e32 v19, 1, v18
	v_dot2c_f32_f16 v47, v2, v14
	v_dot2c_f32_f16 v46, v2, v15
	v_dot2c_f32_f16 v75, v3, v12
	v_dot2c_f32_f16 v74, v3, v13
	buffer_load_dwordx2 v[116:117], v19, s[0:3], 0 offen
	v_dot2c_f32_f16 v41, v3, v14
	v_dot2c_f32_f16 v40, v3, v15
	;; [unrolled: 1-line block ×14, first 2 shown]
	ds_read_b128 v[0:3], v88 offset:7168
	s_waitcnt lgkmcnt(1)
	v_dot2c_f32_f16 v71, v8, v12
	v_dot2c_f32_f16 v70, v8, v13
	;; [unrolled: 1-line block ×15, first 2 shown]
	ds_read_b128 v[18:21], v89 offset:23552
	v_dot2c_f32_f16 v38, v11, v15
	v_dot2c_f32_f16 v69, v8, v4
	;; [unrolled: 1-line block ×15, first 2 shown]
	ds_read_b128 v[12:15], v89 offset:23808
	v_dot2c_f32_f16 v36, v11, v6
	v_dot2c_f32_f16 v37, v11, v7
	ds_read_b128 v[4:7], v88 offset:7424
	s_waitcnt lgkmcnt(2)
	v_dot2c_f32_f16 v87, v0, v18
	v_dot2c_f32_f16 v86, v0, v19
	;; [unrolled: 1-line block ×16, first 2 shown]
	s_waitcnt lgkmcnt(1)
	v_dot2c_f32_f16 v85, v0, v12
	v_dot2c_f32_f16 v84, v0, v13
	v_dot2c_f32_f16 v53, v0, v14
	v_dot2c_f32_f16 v52, v0, v15
	v_dot2c_f32_f16 v81, v1, v12
	v_dot2c_f32_f16 v80, v1, v13
	v_dot2c_f32_f16 v50, v1, v14
	v_dot2c_f32_f16 v51, v1, v15
	v_dot2c_f32_f16 v77, v2, v12
	v_dot2c_f32_f16 v76, v2, v13
	v_dot2c_f32_f16 v44, v2, v14
	v_dot2c_f32_f16 v45, v2, v15
	v_dot2c_f32_f16 v73, v3, v12
	v_dot2c_f32_f16 v72, v3, v13
	v_dot2c_f32_f16 v42, v3, v14
	v_dot2c_f32_f16 v43, v3, v15
	ds_read_b128 v[0:3], v88 offset:7680
	s_waitcnt lgkmcnt(1)
	v_dot2c_f32_f16 v71, v4, v18
	v_dot2c_f32_f16 v70, v4, v19
	;; [unrolled: 1-line block ×15, first 2 shown]
	ds_read_b128 v[8:11], v89 offset:24064
	v_dot2c_f32_f16 v38, v7, v21
	v_dot2c_f32_f16 v69, v4, v12
	;; [unrolled: 1-line block ×17, first 2 shown]
	ds_read_b128 v[4:7], v88 offset:7936
	ds_read_b128 v[18:21], v89 offset:24320
	v_cmp_gt_i32_e64 s0, s27, v16
	s_waitcnt lgkmcnt(2)
	v_dot2c_f32_f16 v60, v0, v10
	v_dot2c_f32_f16 v49, v1, v10
	;; [unrolled: 1-line block ×4, first 2 shown]
	s_and_b32 s1, s0, vcc_lo
	v_dot2c_f32_f16 v87, v0, v8
	v_dot2c_f32_f16 v86, v0, v9
	;; [unrolled: 1-line block ×6, first 2 shown]
	v_or_b32_e32 v12, 1, v16
	v_dot2c_f32_f16 v82, v1, v9
	v_dot2c_f32_f16 v48, v1, v11
	;; [unrolled: 1-line block ×5, first 2 shown]
	s_waitcnt lgkmcnt(1)
	v_dot2c_f32_f16 v25, v4, v10
	v_dot2c_f32_f16 v31, v5, v10
	;; [unrolled: 1-line block ×4, first 2 shown]
	v_add_nc_u32_e32 v10, 64, v17
	s_waitcnt lgkmcnt(0)
	v_dot2c_f32_f16 v85, v0, v18
	v_dot2c_f32_f16 v84, v0, v19
	;; [unrolled: 1-line block ×19, first 2 shown]
	s_waitcnt vmcnt(15)
	v_cndmask_b32_e64 v8, 0, v23, s1
	v_cndmask_b32_e64 v0, 0, v22, s1
	v_cmp_gt_i32_e64 s1, s28, v10
	v_dot2c_f32_f16 v38, v7, v11
	v_dot2c_f32_f16 v74, v3, v9
	;; [unrolled: 1-line block ×3, first 2 shown]
	v_cvt_f32_f16_e32 v1, v0
	s_and_b32 s0, s0, s1
	v_cvt_f32_f16_sdwa v0, v0 dst_sel:DWORD dst_unused:UNUSED_PAD src0_sel:WORD_1
	s_waitcnt vmcnt(14)
	v_cndmask_b32_e64 v2, 0, v90, s0
	v_cndmask_b32_e64 v11, 0, v91, s0
	v_cmp_gt_i32_e64 s0, s27, v12
	v_dot2c_f32_f16 v72, v3, v19
	v_dot2c_f32_f16 v42, v3, v20
	;; [unrolled: 1-line block ×3, first 2 shown]
	v_add_f32_e32 v1, v87, v1
	v_add_f32_e32 v0, v86, v0
	v_cvt_f32_f16_e32 v3, v2
	s_and_b32 s2, s0, vcc_lo
	v_dot2c_f32_f16 v70, v4, v9
	v_dot2c_f32_f16 v65, v5, v9
	v_dot2c_f32_f16 v57, v6, v9
	v_dot2c_f32_f16 v67, v7, v9
	v_max_f32_e32 v9, 0, v1
	v_max_f32_e32 v13, 0, v0
	v_add_f32_e32 v0, v85, v3
	s_waitcnt vmcnt(13)
	v_cndmask_b32_e64 v1, 0, v92, s2
	v_dot2c_f32_f16 v68, v4, v19
	v_dot2c_f32_f16 v62, v5, v19
	;; [unrolled: 1-line block ×4, first 2 shown]
	v_or_b32_e32 v19, 2, v16
	v_dot2c_f32_f16 v69, v4, v18
	v_dot2c_f32_f16 v64, v5, v18
	;; [unrolled: 1-line block ×4, first 2 shown]
	s_and_b32 s0, s0, s1
	v_max_f32_e32 v18, 0, v0
	v_cvt_f32_f16_e32 v0, v1
	v_cvt_f32_f16_sdwa v1, v1 dst_sel:DWORD dst_unused:UNUSED_PAD src0_sel:WORD_1
	s_waitcnt vmcnt(12)
	v_cndmask_b32_e64 v3, 0, v94, s0
	v_cvt_f32_f16_sdwa v2, v2 dst_sel:DWORD dst_unused:UNUSED_PAD src0_sel:WORD_1
	v_cndmask_b32_e64 v15, 0, v95, s0
	v_cmp_gt_i32_e64 s0, s27, v19
	v_add_f32_e32 v0, v83, v0
	v_add_f32_e32 v1, v82, v1
	v_dot2c_f32_f16 v27, v4, v20
	v_dot2c_f32_f16 v26, v4, v21
	v_cvt_f32_f16_e32 v4, v3
	v_add_f32_e32 v2, v84, v2
	v_cndmask_b32_e64 v14, 0, v93, s2
	s_and_b32 s2, s0, vcc_lo
	v_dot2c_f32_f16 v28, v5, v21
	v_dot2c_f32_f16 v34, v6, v21
	;; [unrolled: 1-line block ×3, first 2 shown]
	v_max_f32_e32 v21, 0, v0
	v_max_f32_e32 v22, 0, v1
	v_cvt_f32_f16_sdwa v0, v3 dst_sel:DWORD dst_unused:UNUSED_PAD src0_sel:WORD_1
	s_waitcnt vmcnt(11)
	v_cndmask_b32_e64 v1, 0, v96, s2
	s_and_b32 s0, s0, s1
	v_or_b32_e32 v83, 3, v16
	v_dot2c_f32_f16 v29, v5, v20
	v_dot2c_f32_f16 v35, v6, v20
	;; [unrolled: 1-line block ×3, first 2 shown]
	v_add_f32_e32 v4, v81, v4
	v_max_f32_e32 v20, 0, v2
	s_waitcnt vmcnt(10)
	v_cndmask_b32_e64 v2, 0, v98, s0
	v_cndmask_b32_e64 v82, 0, v99, s0
	v_add_f32_e32 v0, v80, v0
	v_cvt_f32_f16_e32 v3, v1
	v_cmp_gt_i32_e64 s0, s27, v83
	v_max_f32_e32 v23, 0, v4
	v_cvt_f32_f16_sdwa v1, v1 dst_sel:DWORD dst_unused:UNUSED_PAD src0_sel:WORD_1
	v_cvt_f32_f16_e32 v4, v2
	v_cndmask_b32_e64 v81, 0, v97, s2
	v_max_f32_e32 v80, 0, v0
	v_add_f32_e32 v0, v79, v3
	s_and_b32 s2, s0, vcc_lo
	v_add_f32_e32 v1, v78, v1
	v_add_f32_e32 v3, v77, v4
	s_waitcnt vmcnt(8)
	v_cndmask_b32_e64 v4, 0, v100, s2
	v_max_f32_e32 v78, 0, v0
	s_and_b32 s0, s0, s1
	v_or_b32_e32 v0, 64, v16
	v_max_f32_e32 v79, 0, v1
	v_max_f32_e32 v84, 0, v3
	v_cvt_f32_f16_sdwa v1, v2 dst_sel:DWORD dst_unused:UNUSED_PAD src0_sel:WORD_1
	v_cvt_f32_f16_e32 v2, v4
	v_cvt_f32_f16_sdwa v3, v4 dst_sel:DWORD dst_unused:UNUSED_PAD src0_sel:WORD_1
	v_cndmask_b32_e64 v4, 0, v102, s0
	v_cndmask_b32_e64 v85, 0, v103, s0
	v_cmp_gt_i32_e64 s0, s27, v0
	v_add_f32_e32 v1, v76, v1
	v_add_f32_e32 v2, v75, v2
	v_cvt_f32_f16_e32 v5, v4
	v_cvt_f32_f16_sdwa v4, v4 dst_sel:DWORD dst_unused:UNUSED_PAD src0_sel:WORD_1
	v_cndmask_b32_e64 v77, 0, v101, s2
	s_and_b32 s2, s0, vcc_lo
	s_and_b32 s0, s0, s1
	v_add_f32_e32 v3, v74, v3
	s_waitcnt vmcnt(6)
	v_cndmask_b32_e64 v7, 0, v106, s0
	v_add_f32_e32 v72, v72, v4
	v_add_nc_u32_e32 v4, 0x41, v16
	v_max_f32_e32 v74, 0, v1
	v_max_f32_e32 v75, 0, v2
	v_add_f32_e32 v1, v73, v5
	v_cndmask_b32_e64 v2, 0, v104, s2
	v_cndmask_b32_e64 v5, 0, v107, s0
	v_cvt_f32_f16_e32 v6, v7
	v_cmp_gt_i32_e64 s0, s27, v4
	v_cvt_f32_f16_sdwa v7, v7 dst_sel:DWORD dst_unused:UNUSED_PAD src0_sel:WORD_1
	v_max_f32_e32 v73, 0, v1
	v_cvt_f32_f16_e32 v1, v2
	v_max_f32_e32 v76, 0, v3
	v_cndmask_b32_e64 v3, 0, v105, s2
	s_and_b32 s2, s0, vcc_lo
	v_add_f32_e32 v7, v68, v7
	v_add_nc_u32_e32 v68, 0x42, v16
	v_add_f32_e32 v1, v71, v1
	s_and_b32 s0, s0, s1
	s_waitcnt vmcnt(5)
	v_cndmask_b32_e64 v71, 0, v108, s2
	v_cvt_f32_f16_sdwa v2, v2 dst_sel:DWORD dst_unused:UNUSED_PAD src0_sel:WORD_1
	v_add_f32_e32 v6, v69, v6
	v_max_f32_e32 v69, 0, v72
	s_waitcnt vmcnt(4)
	v_cndmask_b32_e64 v72, 0, v111, s0
	v_cndmask_b32_e64 v86, 0, v110, s0
	v_cmp_gt_i32_e64 s0, s27, v68
	v_cvt_f32_f16_e32 v87, v71
	v_add_f32_e32 v2, v70, v2
	v_cndmask_b32_e64 v70, 0, v109, s2
	v_cvt_f32_f16_e32 v88, v86
	s_and_b32 s2, s0, vcc_lo
	v_max_f32_e32 v89, 0, v7
	v_add_f32_e32 v7, v66, v87
	v_cvt_f32_f16_sdwa v66, v86 dst_sel:DWORD dst_unused:UNUSED_PAD src0_sel:WORD_1
	s_and_b32 s0, s0, s1
	s_waitcnt vmcnt(3)
	v_cndmask_b32_e64 v86, 0, v112, s2
	v_add_f32_e32 v64, v64, v88
	v_max_f32_e32 v87, 0, v7
	v_add_f32_e32 v7, v62, v66
	v_cvt_f16_f32_e32 v9, v9
	v_cvt_f32_f16_e32 v62, v86
	v_cvt_f32_f16_sdwa v66, v86 dst_sel:DWORD dst_unused:UNUSED_PAD src0_sel:WORD_1
	v_add_nc_u32_e32 v86, 0x43, v16
	s_waitcnt vmcnt(2)
	v_cndmask_b32_e64 v88, 0, v115, s0
	v_cndmask_b32_e64 v90, 0, v114, s0
	v_max_f32_e32 v91, 0, v7
	v_add_f32_e32 v7, v58, v62
	v_cmp_gt_i32_e64 s0, s27, v86
	v_add_f32_e32 v57, v57, v66
	v_cvt_f32_f16_e32 v58, v90
	v_cvt_f32_f16_sdwa v62, v90 dst_sel:DWORD dst_unused:UNUSED_PAD src0_sel:WORD_1
	v_max_f32_e32 v92, 0, v7
	s_and_b32 vcc_lo, s0, vcc_lo
	v_cvt_f16_f32_e32 v13, v13
	v_add_f32_e32 v7, v56, v58
	v_add_f32_e32 v55, v55, v62
	v_cvt_f32_f16_sdwa v71, v71 dst_sel:DWORD dst_unused:UNUSED_PAD src0_sel:WORD_1
	s_lshl_b32 s6, s64, 1
	s_waitcnt vmcnt(0)
	v_cndmask_b32_e32 v90, 0, v116, vcc_lo
	v_cndmask_b32_e32 v66, 0, v117, vcc_lo
	s_and_b32 vcc_lo, s0, s1
	v_max_f32_e32 v93, 0, v7
	v_cndmask_b32_e32 v62, 0, v118, vcc_lo
	v_cvt_f32_f16_e32 v56, v90
	v_cvt_f32_f16_sdwa v90, v90 dst_sel:DWORD dst_unused:UNUSED_PAD src0_sel:WORD_1
	v_cndmask_b32_e32 v58, 0, v119, vcc_lo
	v_cmp_gt_i32_e32 vcc_lo, s23, v17
	v_cmp_gt_i32_e64 s1, s15, v16
	v_add_f32_e32 v7, v54, v56
	v_cvt_f32_f16_e32 v54, v62
	v_add_f32_e32 v56, v67, v90
	v_cvt_f32_f16_sdwa v67, v8 dst_sel:DWORD dst_unused:UNUSED_PAD src0_sel:WORD_1
	v_cvt_f32_f16_e32 v8, v8
	v_max_f32_e32 v90, 0, v7
	v_add_f32_e32 v7, v63, v54
	v_max_f32_e32 v54, 0, v56
	v_add_f32_e32 v56, v59, v67
	v_add_f32_e32 v8, v60, v8
	v_cvt_f32_f16_sdwa v59, v62 dst_sel:DWORD dst_unused:UNUSED_PAD src0_sel:WORD_1
	v_max_f32_e32 v60, 0, v7
	v_mul_lo_u32 v7, v16, s34
	s_and_b32 s0, s1, vcc_lo
	v_max_f32_e32 v8, 0, v8
	v_add_f32_e32 v59, v61, v59
	v_cndmask_b32_e64 v16, 0x80000000, 0, s0
	v_cmp_gt_i32_e64 s0, s23, v10
	v_max_f32_e32 v56, 0, v56
	v_cvt_f16_f32_e32 v61, v8
	v_mad_u64_u32 v[7:8], null, v17, s35, v[7:8]
	v_pack_b32_f16 v8, v9, v13
	v_cvt_f32_f16_sdwa v13, v11 dst_sel:DWORD dst_unused:UNUSED_PAD src0_sel:WORD_1
	v_cvt_f32_f16_e32 v11, v11
	v_add_f32_e32 v65, v65, v71
	v_cndmask_b32_e64 v71, 0, v113, s2
	s_lshl_b32 s2, s35, 6
	v_add_f32_e32 v13, v52, v13
	v_add_f32_e32 v11, v53, v11
	s_and_b32 s1, s1, s0
	v_cvt_f16_f32_e32 v56, v56
	v_cvt_f16_f32_e32 v10, v18
	v_max_f32_e32 v13, 0, v13
	v_max_f32_e32 v11, 0, v11
	v_cvt_f16_f32_e32 v18, v20
	v_add_nc_u32_e32 v17, s2, v7
	v_cndmask_b32_e64 v20, 0x80000000, 0, s1
	v_cvt_f16_f32_e32 v13, v13
	v_cvt_f16_f32_e32 v11, v11
	v_pack_b32_f16 v9, v61, v56
	v_lshl_add_u32 v16, v7, 1, v16
	v_pack_b32_f16 v10, v10, v18
	v_cvt_f32_f16_sdwa v18, v15 dst_sel:DWORD dst_unused:UNUSED_PAD src0_sel:WORD_1
	v_cvt_f32_f16_e32 v15, v15
	v_pack_b32_f16 v11, v11, v13
	v_lshl_add_u32 v13, v17, 1, v20
	buffer_store_dwordx2 v[8:9], v16, s[4:7], 0 offen
	buffer_store_dwordx2 v[10:11], v13, s[4:7], 0 offen
	v_add_f32_e32 v18, v51, v18
	v_add_f32_e32 v8, v50, v15
	v_cmp_gt_i32_e64 s1, s15, v12
	v_cvt_f32_f16_sdwa v12, v14 dst_sel:DWORD dst_unused:UNUSED_PAD src0_sel:WORD_1
	v_cvt_f32_f16_e32 v13, v14
	v_max_f32_e32 v9, 0, v18
	v_cvt_f16_f32_e32 v10, v23
	v_cvt_f16_f32_e32 v11, v80
	v_max_f32_e32 v8, 0, v8
	v_add_f32_e32 v12, v48, v12
	v_add_f32_e32 v13, v49, v13
	s_and_b32 s3, s1, s0
	v_add_nc_u32_e32 v15, s34, v17
	v_cvt_f16_f32_e32 v9, v9
	v_cvt_f16_f32_e32 v14, v8
	v_cndmask_b32_e64 v16, 0x80000000, 0, s3
	v_pack_b32_f16 v8, v10, v11
	v_max_f32_e32 v10, 0, v12
	v_max_f32_e32 v11, 0, v13
	v_cvt_f16_f32_e32 v12, v21
	v_cvt_f16_f32_e32 v13, v22
	v_cvt_f32_f16_sdwa v17, v81 dst_sel:DWORD dst_unused:UNUSED_PAD src0_sel:WORD_1
	v_cvt_f32_f16_e32 v18, v81
	v_pack_b32_f16 v9, v14, v9
	v_lshl_add_u32 v14, v15, 1, v16
	v_cvt_f16_f32_e32 v16, v10
	v_pack_b32_f16 v10, v12, v13
	v_add_f32_e32 v12, v46, v17
	v_add_f32_e32 v13, v47, v18
	s_and_b32 s1, s1, vcc_lo
	v_add_nc_u32_e32 v7, s34, v7
	v_cndmask_b32_e64 v20, 0x80000000, 0, s1
	v_cmp_gt_i32_e64 s1, s15, v19
	v_cvt_f16_f32_e32 v11, v11
	v_max_f32_e32 v12, 0, v12
	v_max_f32_e32 v13, 0, v13
	v_cvt_f16_f32_e32 v17, v78
	s_and_b32 s3, s1, vcc_lo
	v_cvt_f16_f32_e32 v18, v79
	v_cvt_f32_f16_sdwa v21, v82 dst_sel:DWORD dst_unused:UNUSED_PAD src0_sel:WORD_1
	v_pack_b32_f16 v11, v11, v16
	v_lshl_add_u32 v16, v7, 1, v20
	v_add_nc_u32_e32 v7, s34, v7
	v_cvt_f16_f32_e32 v19, v12
	v_cvt_f16_f32_e32 v13, v13
	v_cndmask_b32_e64 v20, 0x80000000, 0, s3
	v_pack_b32_f16 v12, v17, v18
	v_cvt_f32_f16_e32 v17, v82
	v_add_f32_e32 v18, v45, v21
	v_pack_b32_f16 v13, v13, v19
	v_lshl_add_u32 v7, v7, 1, v20
	buffer_store_dwordx2 v[8:9], v14, s[4:7], 0 offen
	v_add_f32_e32 v8, v44, v17
	buffer_store_dwordx2 v[10:11], v16, s[4:7], 0 offen
	buffer_store_dwordx2 v[12:13], v7, s[4:7], 0 offen
	v_max_f32_e32 v7, 0, v18
	v_cvt_f16_f32_e32 v9, v84
	v_max_f32_e32 v8, 0, v8
	v_cvt_f16_f32_e32 v10, v74
	v_cvt_f32_f16_e32 v12, v85
	v_cvt_f16_f32_e32 v11, v7
	v_cvt_f32_f16_sdwa v7, v85 dst_sel:DWORD dst_unused:UNUSED_PAD src0_sel:WORD_1
	v_add_nc_u32_e32 v13, s34, v15
	v_cvt_f16_f32_e32 v8, v8
	v_cvt_f32_f16_sdwa v16, v77 dst_sel:DWORD dst_unused:UNUSED_PAD src0_sel:WORD_1
	v_cvt_f32_f16_e32 v17, v77
	v_add_f32_e32 v15, v43, v7
	v_pack_b32_f16 v7, v9, v10
	v_add_f32_e32 v9, v42, v12
	v_pack_b32_f16 v8, v8, v11
	v_cvt_f16_f32_e32 v11, v73
	v_max_f32_e32 v10, 0, v15
	v_cvt_f16_f32_e32 v12, v69
	v_max_f32_e32 v9, 0, v9
	s_and_b32 s1, s1, s0
	v_add_nc_u32_e32 v15, s34, v13
	v_cndmask_b32_e64 v14, 0x80000000, 0, s1
	v_cvt_f16_f32_e32 v10, v10
	v_cvt_f16_f32_e32 v18, v9
	v_pack_b32_f16 v9, v11, v12
	v_add_f32_e32 v11, v40, v16
	v_add_f32_e32 v12, v41, v17
	v_cmp_gt_i32_e64 s1, s15, v83
	v_lshl_add_u32 v14, v13, 1, v14
	v_pack_b32_f16 v10, v18, v10
	v_max_f32_e32 v11, 0, v11
	v_max_f32_e32 v12, 0, v12
	v_cvt_f16_f32_e32 v18, v75
	v_cvt_f16_f32_e32 v19, v76
	s_and_b32 s3, s1, s0
	s_and_b32 s1, s1, vcc_lo
	v_cndmask_b32_e64 v16, 0x80000000, 0, s3
	v_subrev_nc_u32_e32 v17, s2, v15
	v_cvt_f16_f32_e32 v20, v11
	v_cvt_f16_f32_e32 v12, v12
	v_cndmask_b32_e64 v21, 0x80000000, 0, s1
	v_pack_b32_f16 v11, v18, v19
	v_cvt_f32_f16_e32 v18, v66
	buffer_store_dwordx2 v[7:8], v14, s[4:7], 0 offen
	v_cvt_f32_f16_sdwa v7, v66 dst_sel:DWORD dst_unused:UNUSED_PAD src0_sel:WORD_1
	v_lshl_add_u32 v16, v15, 1, v16
	v_pack_b32_f16 v12, v12, v20
	v_lshl_add_u32 v19, v17, 1, v21
	v_add_f32_e32 v8, v39, v18
	v_add_f32_e32 v7, v38, v7
	v_cmp_gt_i32_e64 s1, s15, v86
	buffer_store_dwordx2 v[9:10], v16, s[4:7], 0 offen
	buffer_store_dwordx2 v[11:12], v19, s[4:7], 0 offen
	v_max_f32_e32 v8, 0, v8
	v_max_f32_e32 v7, 0, v7
	v_cvt_f32_f16_e32 v12, v58
	v_cvt_f32_f16_sdwa v14, v58 dst_sel:DWORD dst_unused:UNUSED_PAD src0_sel:WORD_1
	s_lshl_b32 s3, s34, 6
	s_and_b32 s8, s1, vcc_lo
	v_max_f32_e32 v59, 0, v59
	v_add_nc_u32_e32 v9, s3, v17
	v_cvt_f16_f32_e32 v10, v90
	v_cvt_f16_f32_e32 v11, v54
	;; [unrolled: 1-line block ×4, first 2 shown]
	v_cndmask_b32_e64 v17, 0x80000000, 0, s8
	v_add_f32_e32 v12, v36, v12
	v_add_f32_e32 v14, v37, v14
	v_pack_b32_f16 v7, v10, v11
	v_pack_b32_f16 v8, v8, v16
	v_lshl_add_u32 v16, v9, 1, v17
	v_max_f32_e32 v9, 0, v12
	v_max_f32_e32 v10, 0, v14
	v_cvt_f16_f32_e32 v12, v60
	v_cvt_f16_f32_e32 v14, v59
	v_cvt_f32_f16_sdwa v17, v88 dst_sel:DWORD dst_unused:UNUSED_PAD src0_sel:WORD_1
	v_cvt_f32_f16_e32 v18, v88
	s_and_b32 s1, s1, s0
	v_max_f32_e32 v55, 0, v55
	v_add_nc_u32_e32 v11, s3, v15
	v_cvt_f16_f32_e32 v15, v9
	v_cvt_f16_f32_e32 v10, v10
	v_cndmask_b32_e64 v19, 0x80000000, 0, s1
	v_pack_b32_f16 v9, v12, v14
	v_add_f32_e32 v12, v34, v17
	v_add_f32_e32 v14, v35, v18
	v_cmp_ge_i32_e64 s1, s15, v86
	v_pack_b32_f16 v10, v15, v10
	v_lshl_add_u32 v15, v11, 1, v19
	v_max_f32_e32 v11, 0, v12
	v_max_f32_e32 v12, 0, v14
	v_cvt_f16_f32_e32 v14, v93
	v_cvt_f16_f32_e32 v17, v55
	s_and_b32 s1, s1, s0
	v_cvt_f16_f32_e32 v18, v11
	v_add_nc_u32_e32 v13, s3, v13
	v_cvt_f16_f32_e32 v12, v12
	v_pack_b32_f16 v11, v14, v17
	v_cvt_f32_f16_sdwa v14, v71 dst_sel:DWORD dst_unused:UNUSED_PAD src0_sel:WORD_1
	v_cndmask_b32_e64 v19, 0x80000000, 0, s1
	v_max_f32_e32 v57, 0, v57
	buffer_store_dwordx2 v[7:8], v16, s[4:7], 0 offen
	v_pack_b32_f16 v12, v12, v18
	v_add_f32_e32 v7, v32, v14
	v_lshl_add_u32 v18, v13, 1, v19
	v_cmp_gt_i32_e64 s1, s15, v68
	buffer_store_dwordx2 v[9:10], v15, s[4:7], 0 offen
	buffer_store_dwordx2 v[11:12], v18, s[4:7], 0 offen
	v_subrev_nc_u32_e32 v9, s2, v13
	v_max_f32_e32 v7, 0, v7
	v_cvt_f16_f32_e32 v10, v92
	v_cvt_f16_f32_e32 v11, v57
	v_cvt_f32_f16_e32 v13, v70
	v_cvt_f32_f16_sdwa v14, v70 dst_sel:DWORD dst_unused:UNUSED_PAD src0_sel:WORD_1
	s_and_b32 s1, s1, vcc_lo
	v_cvt_f32_f16_e32 v17, v71
	v_cvt_f16_f32_e32 v12, v7
	v_cndmask_b32_e64 v15, 0x80000000, 0, s1
	v_pack_b32_f16 v7, v10, v11
	v_add_f32_e32 v10, v30, v14
	v_add_f32_e32 v11, v31, v13
	v_add_f32_e32 v8, v33, v17
	v_lshl_add_u32 v13, v9, 1, v15
	v_cvt_f32_f16_e32 v14, v72
	v_max_f32_e32 v10, 0, v10
	v_max_f32_e32 v11, 0, v11
	v_cvt_f32_f16_sdwa v15, v72 dst_sel:DWORD dst_unused:UNUSED_PAD src0_sel:WORD_1
	v_max_f32_e32 v8, 0, v8
	v_add_f32_e32 v14, v29, v14
	v_cvt_f16_f32_e32 v10, v10
	v_cvt_f16_f32_e32 v11, v11
	v_add_f32_e32 v15, v28, v15
	v_cmp_ge_i32_e64 s1, s15, v68
	v_max_f32_e32 v65, 0, v65
	v_cvt_f16_f32_e32 v8, v8
	v_pack_b32_f16 v10, v11, v10
	v_max_f32_e32 v11, 0, v14
	v_max_f32_e32 v14, 0, v15
	s_and_b32 s1, s1, vcc_lo
	v_max_f32_e32 v64, 0, v64
	v_pack_b32_f16 v8, v8, v12
	v_subrev_nc_u32_e32 v12, s34, v9
	v_cvt_f16_f32_e32 v9, v87
	v_cvt_f16_f32_e32 v16, v65
	v_cndmask_b32_e64 v15, 0x80000000, 0, s1
	v_cvt_f16_f32_e32 v14, v14
	v_cvt_f16_f32_e32 v18, v11
	v_max_f32_e32 v6, 0, v6
	v_pack_b32_f16 v9, v9, v16
	v_cvt_f16_f32_e32 v16, v64
	v_cvt_f16_f32_e32 v17, v91
	v_lshl_add_u32 v15, v12, 1, v15
	v_add_nc_u32_e32 v19, s2, v12
	v_pack_b32_f16 v12, v18, v14
	v_cvt_f32_f16_e32 v14, v5
	v_cvt_f32_f16_sdwa v5, v5 dst_sel:DWORD dst_unused:UNUSED_PAD src0_sel:WORD_1
	v_cmp_gt_i32_e64 s1, s15, v4
	v_pack_b32_f16 v11, v16, v17
	v_cvt_f16_f32_e32 v6, v6
	v_cvt_f16_f32_e32 v17, v89
	v_add_f32_e32 v18, v26, v5
	v_add_f32_e32 v14, v27, v14
	s_and_b32 s1, s1, s0
	v_max_f32_e32 v1, 0, v1
	v_pack_b32_f16 v5, v6, v17
	v_max_f32_e32 v6, 0, v18
	v_max_f32_e32 v14, 0, v14
	v_cvt_f32_f16_sdwa v17, v3 dst_sel:DWORD dst_unused:UNUSED_PAD src0_sel:WORD_1
	v_cvt_f32_f16_e32 v3, v3
	v_cndmask_b32_e64 v16, 0x80000000, 0, s1
	v_cmp_ge_i32_e64 s1, s15, v4
	v_cvt_f16_f32_e32 v4, v6
	v_cvt_f16_f32_e32 v6, v14
	v_add_f32_e32 v14, v24, v17
	v_add_f32_e32 v3, v25, v3
	s_and_b32 s0, s1, s0
	v_max_f32_e32 v2, 0, v2
	v_cndmask_b32_e64 v17, 0x80000000, 0, s0
	v_cmp_gt_i32_e64 s0, s15, v0
	v_lshl_add_u32 v16, v19, 1, v16
	v_subrev_nc_u32_e32 v19, s34, v19
	v_max_f32_e32 v14, 0, v14
	v_max_f32_e32 v3, 0, v3
	s_and_b32 s0, s0, vcc_lo
	v_cvt_f16_f32_e32 v0, v1
	v_subrev_nc_u32_e32 v18, s2, v19
	v_cvt_f16_f32_e32 v1, v2
	v_cvt_f16_f32_e32 v2, v14
	;; [unrolled: 1-line block ×3, first 2 shown]
	v_cndmask_b32_e64 v14, 0x80000000, 0, s0
	v_pack_b32_f16 v6, v6, v4
	v_lshl_add_u32 v4, v19, 1, v17
	v_pack_b32_f16 v0, v0, v1
	v_pack_b32_f16 v1, v3, v2
	v_lshl_add_u32 v2, v18, 1, v14
	buffer_store_dwordx2 v[7:8], v13, s[4:7], 0 offen
	buffer_store_dwordx2 v[9:10], v15, s[4:7], 0 offen
	;; [unrolled: 1-line block ×5, first 2 shown]
	s_endpgm
	.section	.rodata,"a",@progbits
	.p2align	6, 0x0
	.amdhsa_kernel _ZN2ck16tensor_operation6device12_GLOBAL__N_137kernel_grouped_conv_fwd_dl_multiple_dINS_32GridwiseGemmDlMultipleD_km_kn_mnILi256EDF16_fNS_5TupleIJDF16_EEEDF16_NS0_12element_wise11PassThroughES8_NS7_7AddReluELNS_25InMemoryDataOperationEnumE0ENS_16TensorDescriptorINS5_IJNS_5EmbedINS5_IJiiiiiEEESD_Lb0EEENS_11PassThroughIiEENS_3PadIiiiLb0EEESI_SI_SG_SG_NSC_INS5_IJiiEEESJ_Lb0EEESK_SK_SG_NS_23Merge_v2_magic_divisionINS5_IJiiiiEEEEESN_NS_8RightPadIiiLb0EEESP_NS_7UnMergeISJ_Lb0EEESG_EEENS5_IJNS_8SequenceIJLi0EEEENST_IJLi1EEEENST_IJLi2EEEENST_IJLi3EEEENST_IJLi4EEEENST_IJLi5EEEENST_IJLi6EEEENST_IJLi7EEEENST_IJLi8EEEENST_IJLi9EEEENST_IJLi10EEEENST_IJLi11ELi13ELi15ELi17EEEENST_IJLi12ELi14ELi16ELi18EEEENST_IJLi19EEEENST_IJLi20EEEENST_IJLi22EEEENST_IJLi21EEEEEEENS5_IJNST_IJLi1ELi2ELi3ELi4ELi5EEEES10_S11_S12_S13_S14_NST_IJLi11EEEENST_IJLi12ELi13EEEENST_IJLi14ELi15EEEENST_IJLi16ELi17EEEENST_IJLi18EEEES17_S18_S1A_S19_NST_IJLi23ELi24EEEENST_IJLi25EEEEEEENST_IJLi23ELi25ELi24EEEElEENSB_INS5_IJSR_SP_SP_SR_SG_EEENS5_IJSU_SV_SW_SY_SX_EEENS5_IJNST_IJLi1ELi2EEEESX_SY_NST_IJLi5ELi6EEEES11_EEENST_IJLi5ELi7ELi6EEEElEENSB_INS5_IJSK_SP_SP_EEENS5_IJSU_SV_SW_EEENS5_IJS1P_SX_SY_EEENST_IJLi3ELi4EEEElEELi128ELi128ELi16ELi2ELi4ELi4ELi1ENST_IJLi8ELi2EEEES1Z_NST_IJLi8ELi1ELi1ELi2EEEENST_IJLi2ELi1ELi128ELi1EEEENST_IJLi1ELi2ELi0ELi3EEEES22_NST_IJLi4ELi1ELi1ELi2EEEES22_NST_IJLi1ELi1ELi1ELi2EEEES20_S21_S22_S22_S23_S22_S24_NST_IJLi0ELi1ELi2ELi3ELi4ELi5EEEELi5ELi4EEEDF16_NS5_IJPKDF16_EEEDF16_S8_S8_S9_NSB_INS5_IJSE_SG_SI_SI_SI_SG_SG_SK_SK_SK_SG_SN_SN_SP_SP_SR_SG_SG_NSQ_INS5_IJiNS_17integral_constantIiLi128EEEEEELb0EEENSF_INS2A_IiLi2EEEEEEEENS5_IJSU_SV_SW_SX_SY_SZ_S10_S11_S12_S13_S14_S15_S16_S17_S18_S19_S1A_NST_IJLi23EEEES1J_NST_IJLi24EEEEEEENS5_IJS1C_S10_S11_S12_S13_S14_S1D_S1E_S1F_S1G_S1H_S17_S18_S1A_S19_S1I_S1J_NST_IJLi26EEEENST_IJLi27ELi28EEEENST_IJLi29EEEEEEENST_IJLi26ELi27ELi28ELi29EEEElEENSB_INS5_IJSR_SP_SP_SR_SG_SG_S2D_S2F_EEENS5_IJSU_SV_SW_SY_SX_SZ_S11_S10_EEENS5_IJS1P_SX_SY_S1Q_S11_S12_NST_IJLi9ELi10EEEES1D_EEENST_IJLi8ELi9ELi10ELi11EEEElEENS5_IJNSB_INS5_IJSK_SP_SP_NSQ_INS5_IJiS2E_NS2A_IiLi64EEEEEELb0EEES2Y_EEENS5_IJSU_SV_SW_SX_SY_EEENS5_IJS1P_SX_SY_NST_IJLi5ELi6ELi7EEEENST_IJLi8ELi9ELi10EEEEEEENST_IJLi5ELi6ELi7ELi8ELi9ELi10EEEElEEEEES35_NS_31BlockToCTileMap_M00_N00_M01_N01ILi128ELi128ES1Y_Lb0EEENS1_30ComputePtrOffsetOfStridedBatchILi1ELi1ELi1EvEELb1ELb0EEEvPKT0_S3D_T1_PT2_T3_T4_T5_iT6_T7_T8_T9_T10_T11_
		.amdhsa_group_segment_fixed_size 32768
		.amdhsa_private_segment_fixed_size 0
		.amdhsa_kernarg_size 1024
		.amdhsa_user_sgpr_count 6
		.amdhsa_user_sgpr_private_segment_buffer 1
		.amdhsa_user_sgpr_dispatch_ptr 0
		.amdhsa_user_sgpr_queue_ptr 0
		.amdhsa_user_sgpr_kernarg_segment_ptr 1
		.amdhsa_user_sgpr_dispatch_id 0
		.amdhsa_user_sgpr_flat_scratch_init 0
		.amdhsa_user_sgpr_private_segment_size 0
		.amdhsa_wavefront_size32 1
		.amdhsa_uses_dynamic_stack 0
		.amdhsa_system_sgpr_private_segment_wavefront_offset 0
		.amdhsa_system_sgpr_workgroup_id_x 1
		.amdhsa_system_sgpr_workgroup_id_y 0
		.amdhsa_system_sgpr_workgroup_id_z 0
		.amdhsa_system_sgpr_workgroup_info 0
		.amdhsa_system_vgpr_workitem_id 0
		.amdhsa_next_free_vgpr 146
		.amdhsa_next_free_sgpr 83
		.amdhsa_reserve_vcc 1
		.amdhsa_reserve_flat_scratch 0
		.amdhsa_float_round_mode_32 0
		.amdhsa_float_round_mode_16_64 0
		.amdhsa_float_denorm_mode_32 3
		.amdhsa_float_denorm_mode_16_64 3
		.amdhsa_dx10_clamp 1
		.amdhsa_ieee_mode 1
		.amdhsa_fp16_overflow 0
		.amdhsa_workgroup_processor_mode 1
		.amdhsa_memory_ordered 1
		.amdhsa_forward_progress 1
		.amdhsa_shared_vgpr_count 0
		.amdhsa_exception_fp_ieee_invalid_op 0
		.amdhsa_exception_fp_denorm_src 0
		.amdhsa_exception_fp_ieee_div_zero 0
		.amdhsa_exception_fp_ieee_overflow 0
		.amdhsa_exception_fp_ieee_underflow 0
		.amdhsa_exception_fp_ieee_inexact 0
		.amdhsa_exception_int_div_zero 0
	.end_amdhsa_kernel
	.section	.text._ZN2ck16tensor_operation6device12_GLOBAL__N_137kernel_grouped_conv_fwd_dl_multiple_dINS_32GridwiseGemmDlMultipleD_km_kn_mnILi256EDF16_fNS_5TupleIJDF16_EEEDF16_NS0_12element_wise11PassThroughES8_NS7_7AddReluELNS_25InMemoryDataOperationEnumE0ENS_16TensorDescriptorINS5_IJNS_5EmbedINS5_IJiiiiiEEESD_Lb0EEENS_11PassThroughIiEENS_3PadIiiiLb0EEESI_SI_SG_SG_NSC_INS5_IJiiEEESJ_Lb0EEESK_SK_SG_NS_23Merge_v2_magic_divisionINS5_IJiiiiEEEEESN_NS_8RightPadIiiLb0EEESP_NS_7UnMergeISJ_Lb0EEESG_EEENS5_IJNS_8SequenceIJLi0EEEENST_IJLi1EEEENST_IJLi2EEEENST_IJLi3EEEENST_IJLi4EEEENST_IJLi5EEEENST_IJLi6EEEENST_IJLi7EEEENST_IJLi8EEEENST_IJLi9EEEENST_IJLi10EEEENST_IJLi11ELi13ELi15ELi17EEEENST_IJLi12ELi14ELi16ELi18EEEENST_IJLi19EEEENST_IJLi20EEEENST_IJLi22EEEENST_IJLi21EEEEEEENS5_IJNST_IJLi1ELi2ELi3ELi4ELi5EEEES10_S11_S12_S13_S14_NST_IJLi11EEEENST_IJLi12ELi13EEEENST_IJLi14ELi15EEEENST_IJLi16ELi17EEEENST_IJLi18EEEES17_S18_S1A_S19_NST_IJLi23ELi24EEEENST_IJLi25EEEEEEENST_IJLi23ELi25ELi24EEEElEENSB_INS5_IJSR_SP_SP_SR_SG_EEENS5_IJSU_SV_SW_SY_SX_EEENS5_IJNST_IJLi1ELi2EEEESX_SY_NST_IJLi5ELi6EEEES11_EEENST_IJLi5ELi7ELi6EEEElEENSB_INS5_IJSK_SP_SP_EEENS5_IJSU_SV_SW_EEENS5_IJS1P_SX_SY_EEENST_IJLi3ELi4EEEElEELi128ELi128ELi16ELi2ELi4ELi4ELi1ENST_IJLi8ELi2EEEES1Z_NST_IJLi8ELi1ELi1ELi2EEEENST_IJLi2ELi1ELi128ELi1EEEENST_IJLi1ELi2ELi0ELi3EEEES22_NST_IJLi4ELi1ELi1ELi2EEEES22_NST_IJLi1ELi1ELi1ELi2EEEES20_S21_S22_S22_S23_S22_S24_NST_IJLi0ELi1ELi2ELi3ELi4ELi5EEEELi5ELi4EEEDF16_NS5_IJPKDF16_EEEDF16_S8_S8_S9_NSB_INS5_IJSE_SG_SI_SI_SI_SG_SG_SK_SK_SK_SG_SN_SN_SP_SP_SR_SG_SG_NSQ_INS5_IJiNS_17integral_constantIiLi128EEEEEELb0EEENSF_INS2A_IiLi2EEEEEEEENS5_IJSU_SV_SW_SX_SY_SZ_S10_S11_S12_S13_S14_S15_S16_S17_S18_S19_S1A_NST_IJLi23EEEES1J_NST_IJLi24EEEEEEENS5_IJS1C_S10_S11_S12_S13_S14_S1D_S1E_S1F_S1G_S1H_S17_S18_S1A_S19_S1I_S1J_NST_IJLi26EEEENST_IJLi27ELi28EEEENST_IJLi29EEEEEEENST_IJLi26ELi27ELi28ELi29EEEElEENSB_INS5_IJSR_SP_SP_SR_SG_SG_S2D_S2F_EEENS5_IJSU_SV_SW_SY_SX_SZ_S11_S10_EEENS5_IJS1P_SX_SY_S1Q_S11_S12_NST_IJLi9ELi10EEEES1D_EEENST_IJLi8ELi9ELi10ELi11EEEElEENS5_IJNSB_INS5_IJSK_SP_SP_NSQ_INS5_IJiS2E_NS2A_IiLi64EEEEEELb0EEES2Y_EEENS5_IJSU_SV_SW_SX_SY_EEENS5_IJS1P_SX_SY_NST_IJLi5ELi6ELi7EEEENST_IJLi8ELi9ELi10EEEEEEENST_IJLi5ELi6ELi7ELi8ELi9ELi10EEEElEEEEES35_NS_31BlockToCTileMap_M00_N00_M01_N01ILi128ELi128ES1Y_Lb0EEENS1_30ComputePtrOffsetOfStridedBatchILi1ELi1ELi1EvEELb1ELb0EEEvPKT0_S3D_T1_PT2_T3_T4_T5_iT6_T7_T8_T9_T10_T11_,"axG",@progbits,_ZN2ck16tensor_operation6device12_GLOBAL__N_137kernel_grouped_conv_fwd_dl_multiple_dINS_32GridwiseGemmDlMultipleD_km_kn_mnILi256EDF16_fNS_5TupleIJDF16_EEEDF16_NS0_12element_wise11PassThroughES8_NS7_7AddReluELNS_25InMemoryDataOperationEnumE0ENS_16TensorDescriptorINS5_IJNS_5EmbedINS5_IJiiiiiEEESD_Lb0EEENS_11PassThroughIiEENS_3PadIiiiLb0EEESI_SI_SG_SG_NSC_INS5_IJiiEEESJ_Lb0EEESK_SK_SG_NS_23Merge_v2_magic_divisionINS5_IJiiiiEEEEESN_NS_8RightPadIiiLb0EEESP_NS_7UnMergeISJ_Lb0EEESG_EEENS5_IJNS_8SequenceIJLi0EEEENST_IJLi1EEEENST_IJLi2EEEENST_IJLi3EEEENST_IJLi4EEEENST_IJLi5EEEENST_IJLi6EEEENST_IJLi7EEEENST_IJLi8EEEENST_IJLi9EEEENST_IJLi10EEEENST_IJLi11ELi13ELi15ELi17EEEENST_IJLi12ELi14ELi16ELi18EEEENST_IJLi19EEEENST_IJLi20EEEENST_IJLi22EEEENST_IJLi21EEEEEEENS5_IJNST_IJLi1ELi2ELi3ELi4ELi5EEEES10_S11_S12_S13_S14_NST_IJLi11EEEENST_IJLi12ELi13EEEENST_IJLi14ELi15EEEENST_IJLi16ELi17EEEENST_IJLi18EEEES17_S18_S1A_S19_NST_IJLi23ELi24EEEENST_IJLi25EEEEEEENST_IJLi23ELi25ELi24EEEElEENSB_INS5_IJSR_SP_SP_SR_SG_EEENS5_IJSU_SV_SW_SY_SX_EEENS5_IJNST_IJLi1ELi2EEEESX_SY_NST_IJLi5ELi6EEEES11_EEENST_IJLi5ELi7ELi6EEEElEENSB_INS5_IJSK_SP_SP_EEENS5_IJSU_SV_SW_EEENS5_IJS1P_SX_SY_EEENST_IJLi3ELi4EEEElEELi128ELi128ELi16ELi2ELi4ELi4ELi1ENST_IJLi8ELi2EEEES1Z_NST_IJLi8ELi1ELi1ELi2EEEENST_IJLi2ELi1ELi128ELi1EEEENST_IJLi1ELi2ELi0ELi3EEEES22_NST_IJLi4ELi1ELi1ELi2EEEES22_NST_IJLi1ELi1ELi1ELi2EEEES20_S21_S22_S22_S23_S22_S24_NST_IJLi0ELi1ELi2ELi3ELi4ELi5EEEELi5ELi4EEEDF16_NS5_IJPKDF16_EEEDF16_S8_S8_S9_NSB_INS5_IJSE_SG_SI_SI_SI_SG_SG_SK_SK_SK_SG_SN_SN_SP_SP_SR_SG_SG_NSQ_INS5_IJiNS_17integral_constantIiLi128EEEEEELb0EEENSF_INS2A_IiLi2EEEEEEEENS5_IJSU_SV_SW_SX_SY_SZ_S10_S11_S12_S13_S14_S15_S16_S17_S18_S19_S1A_NST_IJLi23EEEES1J_NST_IJLi24EEEEEEENS5_IJS1C_S10_S11_S12_S13_S14_S1D_S1E_S1F_S1G_S1H_S17_S18_S1A_S19_S1I_S1J_NST_IJLi26EEEENST_IJLi27ELi28EEEENST_IJLi29EEEEEEENST_IJLi26ELi27ELi28ELi29EEEElEENSB_INS5_IJSR_SP_SP_SR_SG_SG_S2D_S2F_EEENS5_IJSU_SV_SW_SY_SX_SZ_S11_S10_EEENS5_IJS1P_SX_SY_S1Q_S11_S12_NST_IJLi9ELi10EEEES1D_EEENST_IJLi8ELi9ELi10ELi11EEEElEENS5_IJNSB_INS5_IJSK_SP_SP_NSQ_INS5_IJiS2E_NS2A_IiLi64EEEEEELb0EEES2Y_EEENS5_IJSU_SV_SW_SX_SY_EEENS5_IJS1P_SX_SY_NST_IJLi5ELi6ELi7EEEENST_IJLi8ELi9ELi10EEEEEEENST_IJLi5ELi6ELi7ELi8ELi9ELi10EEEElEEEEES35_NS_31BlockToCTileMap_M00_N00_M01_N01ILi128ELi128ES1Y_Lb0EEENS1_30ComputePtrOffsetOfStridedBatchILi1ELi1ELi1EvEELb1ELb0EEEvPKT0_S3D_T1_PT2_T3_T4_T5_iT6_T7_T8_T9_T10_T11_,comdat
.Lfunc_end10:
	.size	_ZN2ck16tensor_operation6device12_GLOBAL__N_137kernel_grouped_conv_fwd_dl_multiple_dINS_32GridwiseGemmDlMultipleD_km_kn_mnILi256EDF16_fNS_5TupleIJDF16_EEEDF16_NS0_12element_wise11PassThroughES8_NS7_7AddReluELNS_25InMemoryDataOperationEnumE0ENS_16TensorDescriptorINS5_IJNS_5EmbedINS5_IJiiiiiEEESD_Lb0EEENS_11PassThroughIiEENS_3PadIiiiLb0EEESI_SI_SG_SG_NSC_INS5_IJiiEEESJ_Lb0EEESK_SK_SG_NS_23Merge_v2_magic_divisionINS5_IJiiiiEEEEESN_NS_8RightPadIiiLb0EEESP_NS_7UnMergeISJ_Lb0EEESG_EEENS5_IJNS_8SequenceIJLi0EEEENST_IJLi1EEEENST_IJLi2EEEENST_IJLi3EEEENST_IJLi4EEEENST_IJLi5EEEENST_IJLi6EEEENST_IJLi7EEEENST_IJLi8EEEENST_IJLi9EEEENST_IJLi10EEEENST_IJLi11ELi13ELi15ELi17EEEENST_IJLi12ELi14ELi16ELi18EEEENST_IJLi19EEEENST_IJLi20EEEENST_IJLi22EEEENST_IJLi21EEEEEEENS5_IJNST_IJLi1ELi2ELi3ELi4ELi5EEEES10_S11_S12_S13_S14_NST_IJLi11EEEENST_IJLi12ELi13EEEENST_IJLi14ELi15EEEENST_IJLi16ELi17EEEENST_IJLi18EEEES17_S18_S1A_S19_NST_IJLi23ELi24EEEENST_IJLi25EEEEEEENST_IJLi23ELi25ELi24EEEElEENSB_INS5_IJSR_SP_SP_SR_SG_EEENS5_IJSU_SV_SW_SY_SX_EEENS5_IJNST_IJLi1ELi2EEEESX_SY_NST_IJLi5ELi6EEEES11_EEENST_IJLi5ELi7ELi6EEEElEENSB_INS5_IJSK_SP_SP_EEENS5_IJSU_SV_SW_EEENS5_IJS1P_SX_SY_EEENST_IJLi3ELi4EEEElEELi128ELi128ELi16ELi2ELi4ELi4ELi1ENST_IJLi8ELi2EEEES1Z_NST_IJLi8ELi1ELi1ELi2EEEENST_IJLi2ELi1ELi128ELi1EEEENST_IJLi1ELi2ELi0ELi3EEEES22_NST_IJLi4ELi1ELi1ELi2EEEES22_NST_IJLi1ELi1ELi1ELi2EEEES20_S21_S22_S22_S23_S22_S24_NST_IJLi0ELi1ELi2ELi3ELi4ELi5EEEELi5ELi4EEEDF16_NS5_IJPKDF16_EEEDF16_S8_S8_S9_NSB_INS5_IJSE_SG_SI_SI_SI_SG_SG_SK_SK_SK_SG_SN_SN_SP_SP_SR_SG_SG_NSQ_INS5_IJiNS_17integral_constantIiLi128EEEEEELb0EEENSF_INS2A_IiLi2EEEEEEEENS5_IJSU_SV_SW_SX_SY_SZ_S10_S11_S12_S13_S14_S15_S16_S17_S18_S19_S1A_NST_IJLi23EEEES1J_NST_IJLi24EEEEEEENS5_IJS1C_S10_S11_S12_S13_S14_S1D_S1E_S1F_S1G_S1H_S17_S18_S1A_S19_S1I_S1J_NST_IJLi26EEEENST_IJLi27ELi28EEEENST_IJLi29EEEEEEENST_IJLi26ELi27ELi28ELi29EEEElEENSB_INS5_IJSR_SP_SP_SR_SG_SG_S2D_S2F_EEENS5_IJSU_SV_SW_SY_SX_SZ_S11_S10_EEENS5_IJS1P_SX_SY_S1Q_S11_S12_NST_IJLi9ELi10EEEES1D_EEENST_IJLi8ELi9ELi10ELi11EEEElEENS5_IJNSB_INS5_IJSK_SP_SP_NSQ_INS5_IJiS2E_NS2A_IiLi64EEEEEELb0EEES2Y_EEENS5_IJSU_SV_SW_SX_SY_EEENS5_IJS1P_SX_SY_NST_IJLi5ELi6ELi7EEEENST_IJLi8ELi9ELi10EEEEEEENST_IJLi5ELi6ELi7ELi8ELi9ELi10EEEElEEEEES35_NS_31BlockToCTileMap_M00_N00_M01_N01ILi128ELi128ES1Y_Lb0EEENS1_30ComputePtrOffsetOfStridedBatchILi1ELi1ELi1EvEELb1ELb0EEEvPKT0_S3D_T1_PT2_T3_T4_T5_iT6_T7_T8_T9_T10_T11_, .Lfunc_end10-_ZN2ck16tensor_operation6device12_GLOBAL__N_137kernel_grouped_conv_fwd_dl_multiple_dINS_32GridwiseGemmDlMultipleD_km_kn_mnILi256EDF16_fNS_5TupleIJDF16_EEEDF16_NS0_12element_wise11PassThroughES8_NS7_7AddReluELNS_25InMemoryDataOperationEnumE0ENS_16TensorDescriptorINS5_IJNS_5EmbedINS5_IJiiiiiEEESD_Lb0EEENS_11PassThroughIiEENS_3PadIiiiLb0EEESI_SI_SG_SG_NSC_INS5_IJiiEEESJ_Lb0EEESK_SK_SG_NS_23Merge_v2_magic_divisionINS5_IJiiiiEEEEESN_NS_8RightPadIiiLb0EEESP_NS_7UnMergeISJ_Lb0EEESG_EEENS5_IJNS_8SequenceIJLi0EEEENST_IJLi1EEEENST_IJLi2EEEENST_IJLi3EEEENST_IJLi4EEEENST_IJLi5EEEENST_IJLi6EEEENST_IJLi7EEEENST_IJLi8EEEENST_IJLi9EEEENST_IJLi10EEEENST_IJLi11ELi13ELi15ELi17EEEENST_IJLi12ELi14ELi16ELi18EEEENST_IJLi19EEEENST_IJLi20EEEENST_IJLi22EEEENST_IJLi21EEEEEEENS5_IJNST_IJLi1ELi2ELi3ELi4ELi5EEEES10_S11_S12_S13_S14_NST_IJLi11EEEENST_IJLi12ELi13EEEENST_IJLi14ELi15EEEENST_IJLi16ELi17EEEENST_IJLi18EEEES17_S18_S1A_S19_NST_IJLi23ELi24EEEENST_IJLi25EEEEEEENST_IJLi23ELi25ELi24EEEElEENSB_INS5_IJSR_SP_SP_SR_SG_EEENS5_IJSU_SV_SW_SY_SX_EEENS5_IJNST_IJLi1ELi2EEEESX_SY_NST_IJLi5ELi6EEEES11_EEENST_IJLi5ELi7ELi6EEEElEENSB_INS5_IJSK_SP_SP_EEENS5_IJSU_SV_SW_EEENS5_IJS1P_SX_SY_EEENST_IJLi3ELi4EEEElEELi128ELi128ELi16ELi2ELi4ELi4ELi1ENST_IJLi8ELi2EEEES1Z_NST_IJLi8ELi1ELi1ELi2EEEENST_IJLi2ELi1ELi128ELi1EEEENST_IJLi1ELi2ELi0ELi3EEEES22_NST_IJLi4ELi1ELi1ELi2EEEES22_NST_IJLi1ELi1ELi1ELi2EEEES20_S21_S22_S22_S23_S22_S24_NST_IJLi0ELi1ELi2ELi3ELi4ELi5EEEELi5ELi4EEEDF16_NS5_IJPKDF16_EEEDF16_S8_S8_S9_NSB_INS5_IJSE_SG_SI_SI_SI_SG_SG_SK_SK_SK_SG_SN_SN_SP_SP_SR_SG_SG_NSQ_INS5_IJiNS_17integral_constantIiLi128EEEEEELb0EEENSF_INS2A_IiLi2EEEEEEEENS5_IJSU_SV_SW_SX_SY_SZ_S10_S11_S12_S13_S14_S15_S16_S17_S18_S19_S1A_NST_IJLi23EEEES1J_NST_IJLi24EEEEEEENS5_IJS1C_S10_S11_S12_S13_S14_S1D_S1E_S1F_S1G_S1H_S17_S18_S1A_S19_S1I_S1J_NST_IJLi26EEEENST_IJLi27ELi28EEEENST_IJLi29EEEEEEENST_IJLi26ELi27ELi28ELi29EEEElEENSB_INS5_IJSR_SP_SP_SR_SG_SG_S2D_S2F_EEENS5_IJSU_SV_SW_SY_SX_SZ_S11_S10_EEENS5_IJS1P_SX_SY_S1Q_S11_S12_NST_IJLi9ELi10EEEES1D_EEENST_IJLi8ELi9ELi10ELi11EEEElEENS5_IJNSB_INS5_IJSK_SP_SP_NSQ_INS5_IJiS2E_NS2A_IiLi64EEEEEELb0EEES2Y_EEENS5_IJSU_SV_SW_SX_SY_EEENS5_IJS1P_SX_SY_NST_IJLi5ELi6ELi7EEEENST_IJLi8ELi9ELi10EEEEEEENST_IJLi5ELi6ELi7ELi8ELi9ELi10EEEElEEEEES35_NS_31BlockToCTileMap_M00_N00_M01_N01ILi128ELi128ES1Y_Lb0EEENS1_30ComputePtrOffsetOfStridedBatchILi1ELi1ELi1EvEELb1ELb0EEEvPKT0_S3D_T1_PT2_T3_T4_T5_iT6_T7_T8_T9_T10_T11_
                                        ; -- End function
	.set _ZN2ck16tensor_operation6device12_GLOBAL__N_137kernel_grouped_conv_fwd_dl_multiple_dINS_32GridwiseGemmDlMultipleD_km_kn_mnILi256EDF16_fNS_5TupleIJDF16_EEEDF16_NS0_12element_wise11PassThroughES8_NS7_7AddReluELNS_25InMemoryDataOperationEnumE0ENS_16TensorDescriptorINS5_IJNS_5EmbedINS5_IJiiiiiEEESD_Lb0EEENS_11PassThroughIiEENS_3PadIiiiLb0EEESI_SI_SG_SG_NSC_INS5_IJiiEEESJ_Lb0EEESK_SK_SG_NS_23Merge_v2_magic_divisionINS5_IJiiiiEEEEESN_NS_8RightPadIiiLb0EEESP_NS_7UnMergeISJ_Lb0EEESG_EEENS5_IJNS_8SequenceIJLi0EEEENST_IJLi1EEEENST_IJLi2EEEENST_IJLi3EEEENST_IJLi4EEEENST_IJLi5EEEENST_IJLi6EEEENST_IJLi7EEEENST_IJLi8EEEENST_IJLi9EEEENST_IJLi10EEEENST_IJLi11ELi13ELi15ELi17EEEENST_IJLi12ELi14ELi16ELi18EEEENST_IJLi19EEEENST_IJLi20EEEENST_IJLi22EEEENST_IJLi21EEEEEEENS5_IJNST_IJLi1ELi2ELi3ELi4ELi5EEEES10_S11_S12_S13_S14_NST_IJLi11EEEENST_IJLi12ELi13EEEENST_IJLi14ELi15EEEENST_IJLi16ELi17EEEENST_IJLi18EEEES17_S18_S1A_S19_NST_IJLi23ELi24EEEENST_IJLi25EEEEEEENST_IJLi23ELi25ELi24EEEElEENSB_INS5_IJSR_SP_SP_SR_SG_EEENS5_IJSU_SV_SW_SY_SX_EEENS5_IJNST_IJLi1ELi2EEEESX_SY_NST_IJLi5ELi6EEEES11_EEENST_IJLi5ELi7ELi6EEEElEENSB_INS5_IJSK_SP_SP_EEENS5_IJSU_SV_SW_EEENS5_IJS1P_SX_SY_EEENST_IJLi3ELi4EEEElEELi128ELi128ELi16ELi2ELi4ELi4ELi1ENST_IJLi8ELi2EEEES1Z_NST_IJLi8ELi1ELi1ELi2EEEENST_IJLi2ELi1ELi128ELi1EEEENST_IJLi1ELi2ELi0ELi3EEEES22_NST_IJLi4ELi1ELi1ELi2EEEES22_NST_IJLi1ELi1ELi1ELi2EEEES20_S21_S22_S22_S23_S22_S24_NST_IJLi0ELi1ELi2ELi3ELi4ELi5EEEELi5ELi4EEEDF16_NS5_IJPKDF16_EEEDF16_S8_S8_S9_NSB_INS5_IJSE_SG_SI_SI_SI_SG_SG_SK_SK_SK_SG_SN_SN_SP_SP_SR_SG_SG_NSQ_INS5_IJiNS_17integral_constantIiLi128EEEEEELb0EEENSF_INS2A_IiLi2EEEEEEEENS5_IJSU_SV_SW_SX_SY_SZ_S10_S11_S12_S13_S14_S15_S16_S17_S18_S19_S1A_NST_IJLi23EEEES1J_NST_IJLi24EEEEEEENS5_IJS1C_S10_S11_S12_S13_S14_S1D_S1E_S1F_S1G_S1H_S17_S18_S1A_S19_S1I_S1J_NST_IJLi26EEEENST_IJLi27ELi28EEEENST_IJLi29EEEEEEENST_IJLi26ELi27ELi28ELi29EEEElEENSB_INS5_IJSR_SP_SP_SR_SG_SG_S2D_S2F_EEENS5_IJSU_SV_SW_SY_SX_SZ_S11_S10_EEENS5_IJS1P_SX_SY_S1Q_S11_S12_NST_IJLi9ELi10EEEES1D_EEENST_IJLi8ELi9ELi10ELi11EEEElEENS5_IJNSB_INS5_IJSK_SP_SP_NSQ_INS5_IJiS2E_NS2A_IiLi64EEEEEELb0EEES2Y_EEENS5_IJSU_SV_SW_SX_SY_EEENS5_IJS1P_SX_SY_NST_IJLi5ELi6ELi7EEEENST_IJLi8ELi9ELi10EEEEEEENST_IJLi5ELi6ELi7ELi8ELi9ELi10EEEElEEEEES35_NS_31BlockToCTileMap_M00_N00_M01_N01ILi128ELi128ES1Y_Lb0EEENS1_30ComputePtrOffsetOfStridedBatchILi1ELi1ELi1EvEELb1ELb0EEEvPKT0_S3D_T1_PT2_T3_T4_T5_iT6_T7_T8_T9_T10_T11_.num_vgpr, 146
	.set _ZN2ck16tensor_operation6device12_GLOBAL__N_137kernel_grouped_conv_fwd_dl_multiple_dINS_32GridwiseGemmDlMultipleD_km_kn_mnILi256EDF16_fNS_5TupleIJDF16_EEEDF16_NS0_12element_wise11PassThroughES8_NS7_7AddReluELNS_25InMemoryDataOperationEnumE0ENS_16TensorDescriptorINS5_IJNS_5EmbedINS5_IJiiiiiEEESD_Lb0EEENS_11PassThroughIiEENS_3PadIiiiLb0EEESI_SI_SG_SG_NSC_INS5_IJiiEEESJ_Lb0EEESK_SK_SG_NS_23Merge_v2_magic_divisionINS5_IJiiiiEEEEESN_NS_8RightPadIiiLb0EEESP_NS_7UnMergeISJ_Lb0EEESG_EEENS5_IJNS_8SequenceIJLi0EEEENST_IJLi1EEEENST_IJLi2EEEENST_IJLi3EEEENST_IJLi4EEEENST_IJLi5EEEENST_IJLi6EEEENST_IJLi7EEEENST_IJLi8EEEENST_IJLi9EEEENST_IJLi10EEEENST_IJLi11ELi13ELi15ELi17EEEENST_IJLi12ELi14ELi16ELi18EEEENST_IJLi19EEEENST_IJLi20EEEENST_IJLi22EEEENST_IJLi21EEEEEEENS5_IJNST_IJLi1ELi2ELi3ELi4ELi5EEEES10_S11_S12_S13_S14_NST_IJLi11EEEENST_IJLi12ELi13EEEENST_IJLi14ELi15EEEENST_IJLi16ELi17EEEENST_IJLi18EEEES17_S18_S1A_S19_NST_IJLi23ELi24EEEENST_IJLi25EEEEEEENST_IJLi23ELi25ELi24EEEElEENSB_INS5_IJSR_SP_SP_SR_SG_EEENS5_IJSU_SV_SW_SY_SX_EEENS5_IJNST_IJLi1ELi2EEEESX_SY_NST_IJLi5ELi6EEEES11_EEENST_IJLi5ELi7ELi6EEEElEENSB_INS5_IJSK_SP_SP_EEENS5_IJSU_SV_SW_EEENS5_IJS1P_SX_SY_EEENST_IJLi3ELi4EEEElEELi128ELi128ELi16ELi2ELi4ELi4ELi1ENST_IJLi8ELi2EEEES1Z_NST_IJLi8ELi1ELi1ELi2EEEENST_IJLi2ELi1ELi128ELi1EEEENST_IJLi1ELi2ELi0ELi3EEEES22_NST_IJLi4ELi1ELi1ELi2EEEES22_NST_IJLi1ELi1ELi1ELi2EEEES20_S21_S22_S22_S23_S22_S24_NST_IJLi0ELi1ELi2ELi3ELi4ELi5EEEELi5ELi4EEEDF16_NS5_IJPKDF16_EEEDF16_S8_S8_S9_NSB_INS5_IJSE_SG_SI_SI_SI_SG_SG_SK_SK_SK_SG_SN_SN_SP_SP_SR_SG_SG_NSQ_INS5_IJiNS_17integral_constantIiLi128EEEEEELb0EEENSF_INS2A_IiLi2EEEEEEEENS5_IJSU_SV_SW_SX_SY_SZ_S10_S11_S12_S13_S14_S15_S16_S17_S18_S19_S1A_NST_IJLi23EEEES1J_NST_IJLi24EEEEEEENS5_IJS1C_S10_S11_S12_S13_S14_S1D_S1E_S1F_S1G_S1H_S17_S18_S1A_S19_S1I_S1J_NST_IJLi26EEEENST_IJLi27ELi28EEEENST_IJLi29EEEEEEENST_IJLi26ELi27ELi28ELi29EEEElEENSB_INS5_IJSR_SP_SP_SR_SG_SG_S2D_S2F_EEENS5_IJSU_SV_SW_SY_SX_SZ_S11_S10_EEENS5_IJS1P_SX_SY_S1Q_S11_S12_NST_IJLi9ELi10EEEES1D_EEENST_IJLi8ELi9ELi10ELi11EEEElEENS5_IJNSB_INS5_IJSK_SP_SP_NSQ_INS5_IJiS2E_NS2A_IiLi64EEEEEELb0EEES2Y_EEENS5_IJSU_SV_SW_SX_SY_EEENS5_IJS1P_SX_SY_NST_IJLi5ELi6ELi7EEEENST_IJLi8ELi9ELi10EEEEEEENST_IJLi5ELi6ELi7ELi8ELi9ELi10EEEElEEEEES35_NS_31BlockToCTileMap_M00_N00_M01_N01ILi128ELi128ES1Y_Lb0EEENS1_30ComputePtrOffsetOfStridedBatchILi1ELi1ELi1EvEELb1ELb0EEEvPKT0_S3D_T1_PT2_T3_T4_T5_iT6_T7_T8_T9_T10_T11_.num_agpr, 0
	.set _ZN2ck16tensor_operation6device12_GLOBAL__N_137kernel_grouped_conv_fwd_dl_multiple_dINS_32GridwiseGemmDlMultipleD_km_kn_mnILi256EDF16_fNS_5TupleIJDF16_EEEDF16_NS0_12element_wise11PassThroughES8_NS7_7AddReluELNS_25InMemoryDataOperationEnumE0ENS_16TensorDescriptorINS5_IJNS_5EmbedINS5_IJiiiiiEEESD_Lb0EEENS_11PassThroughIiEENS_3PadIiiiLb0EEESI_SI_SG_SG_NSC_INS5_IJiiEEESJ_Lb0EEESK_SK_SG_NS_23Merge_v2_magic_divisionINS5_IJiiiiEEEEESN_NS_8RightPadIiiLb0EEESP_NS_7UnMergeISJ_Lb0EEESG_EEENS5_IJNS_8SequenceIJLi0EEEENST_IJLi1EEEENST_IJLi2EEEENST_IJLi3EEEENST_IJLi4EEEENST_IJLi5EEEENST_IJLi6EEEENST_IJLi7EEEENST_IJLi8EEEENST_IJLi9EEEENST_IJLi10EEEENST_IJLi11ELi13ELi15ELi17EEEENST_IJLi12ELi14ELi16ELi18EEEENST_IJLi19EEEENST_IJLi20EEEENST_IJLi22EEEENST_IJLi21EEEEEEENS5_IJNST_IJLi1ELi2ELi3ELi4ELi5EEEES10_S11_S12_S13_S14_NST_IJLi11EEEENST_IJLi12ELi13EEEENST_IJLi14ELi15EEEENST_IJLi16ELi17EEEENST_IJLi18EEEES17_S18_S1A_S19_NST_IJLi23ELi24EEEENST_IJLi25EEEEEEENST_IJLi23ELi25ELi24EEEElEENSB_INS5_IJSR_SP_SP_SR_SG_EEENS5_IJSU_SV_SW_SY_SX_EEENS5_IJNST_IJLi1ELi2EEEESX_SY_NST_IJLi5ELi6EEEES11_EEENST_IJLi5ELi7ELi6EEEElEENSB_INS5_IJSK_SP_SP_EEENS5_IJSU_SV_SW_EEENS5_IJS1P_SX_SY_EEENST_IJLi3ELi4EEEElEELi128ELi128ELi16ELi2ELi4ELi4ELi1ENST_IJLi8ELi2EEEES1Z_NST_IJLi8ELi1ELi1ELi2EEEENST_IJLi2ELi1ELi128ELi1EEEENST_IJLi1ELi2ELi0ELi3EEEES22_NST_IJLi4ELi1ELi1ELi2EEEES22_NST_IJLi1ELi1ELi1ELi2EEEES20_S21_S22_S22_S23_S22_S24_NST_IJLi0ELi1ELi2ELi3ELi4ELi5EEEELi5ELi4EEEDF16_NS5_IJPKDF16_EEEDF16_S8_S8_S9_NSB_INS5_IJSE_SG_SI_SI_SI_SG_SG_SK_SK_SK_SG_SN_SN_SP_SP_SR_SG_SG_NSQ_INS5_IJiNS_17integral_constantIiLi128EEEEEELb0EEENSF_INS2A_IiLi2EEEEEEEENS5_IJSU_SV_SW_SX_SY_SZ_S10_S11_S12_S13_S14_S15_S16_S17_S18_S19_S1A_NST_IJLi23EEEES1J_NST_IJLi24EEEEEEENS5_IJS1C_S10_S11_S12_S13_S14_S1D_S1E_S1F_S1G_S1H_S17_S18_S1A_S19_S1I_S1J_NST_IJLi26EEEENST_IJLi27ELi28EEEENST_IJLi29EEEEEEENST_IJLi26ELi27ELi28ELi29EEEElEENSB_INS5_IJSR_SP_SP_SR_SG_SG_S2D_S2F_EEENS5_IJSU_SV_SW_SY_SX_SZ_S11_S10_EEENS5_IJS1P_SX_SY_S1Q_S11_S12_NST_IJLi9ELi10EEEES1D_EEENST_IJLi8ELi9ELi10ELi11EEEElEENS5_IJNSB_INS5_IJSK_SP_SP_NSQ_INS5_IJiS2E_NS2A_IiLi64EEEEEELb0EEES2Y_EEENS5_IJSU_SV_SW_SX_SY_EEENS5_IJS1P_SX_SY_NST_IJLi5ELi6ELi7EEEENST_IJLi8ELi9ELi10EEEEEEENST_IJLi5ELi6ELi7ELi8ELi9ELi10EEEElEEEEES35_NS_31BlockToCTileMap_M00_N00_M01_N01ILi128ELi128ES1Y_Lb0EEENS1_30ComputePtrOffsetOfStridedBatchILi1ELi1ELi1EvEELb1ELb0EEEvPKT0_S3D_T1_PT2_T3_T4_T5_iT6_T7_T8_T9_T10_T11_.numbered_sgpr, 83
	.set _ZN2ck16tensor_operation6device12_GLOBAL__N_137kernel_grouped_conv_fwd_dl_multiple_dINS_32GridwiseGemmDlMultipleD_km_kn_mnILi256EDF16_fNS_5TupleIJDF16_EEEDF16_NS0_12element_wise11PassThroughES8_NS7_7AddReluELNS_25InMemoryDataOperationEnumE0ENS_16TensorDescriptorINS5_IJNS_5EmbedINS5_IJiiiiiEEESD_Lb0EEENS_11PassThroughIiEENS_3PadIiiiLb0EEESI_SI_SG_SG_NSC_INS5_IJiiEEESJ_Lb0EEESK_SK_SG_NS_23Merge_v2_magic_divisionINS5_IJiiiiEEEEESN_NS_8RightPadIiiLb0EEESP_NS_7UnMergeISJ_Lb0EEESG_EEENS5_IJNS_8SequenceIJLi0EEEENST_IJLi1EEEENST_IJLi2EEEENST_IJLi3EEEENST_IJLi4EEEENST_IJLi5EEEENST_IJLi6EEEENST_IJLi7EEEENST_IJLi8EEEENST_IJLi9EEEENST_IJLi10EEEENST_IJLi11ELi13ELi15ELi17EEEENST_IJLi12ELi14ELi16ELi18EEEENST_IJLi19EEEENST_IJLi20EEEENST_IJLi22EEEENST_IJLi21EEEEEEENS5_IJNST_IJLi1ELi2ELi3ELi4ELi5EEEES10_S11_S12_S13_S14_NST_IJLi11EEEENST_IJLi12ELi13EEEENST_IJLi14ELi15EEEENST_IJLi16ELi17EEEENST_IJLi18EEEES17_S18_S1A_S19_NST_IJLi23ELi24EEEENST_IJLi25EEEEEEENST_IJLi23ELi25ELi24EEEElEENSB_INS5_IJSR_SP_SP_SR_SG_EEENS5_IJSU_SV_SW_SY_SX_EEENS5_IJNST_IJLi1ELi2EEEESX_SY_NST_IJLi5ELi6EEEES11_EEENST_IJLi5ELi7ELi6EEEElEENSB_INS5_IJSK_SP_SP_EEENS5_IJSU_SV_SW_EEENS5_IJS1P_SX_SY_EEENST_IJLi3ELi4EEEElEELi128ELi128ELi16ELi2ELi4ELi4ELi1ENST_IJLi8ELi2EEEES1Z_NST_IJLi8ELi1ELi1ELi2EEEENST_IJLi2ELi1ELi128ELi1EEEENST_IJLi1ELi2ELi0ELi3EEEES22_NST_IJLi4ELi1ELi1ELi2EEEES22_NST_IJLi1ELi1ELi1ELi2EEEES20_S21_S22_S22_S23_S22_S24_NST_IJLi0ELi1ELi2ELi3ELi4ELi5EEEELi5ELi4EEEDF16_NS5_IJPKDF16_EEEDF16_S8_S8_S9_NSB_INS5_IJSE_SG_SI_SI_SI_SG_SG_SK_SK_SK_SG_SN_SN_SP_SP_SR_SG_SG_NSQ_INS5_IJiNS_17integral_constantIiLi128EEEEEELb0EEENSF_INS2A_IiLi2EEEEEEEENS5_IJSU_SV_SW_SX_SY_SZ_S10_S11_S12_S13_S14_S15_S16_S17_S18_S19_S1A_NST_IJLi23EEEES1J_NST_IJLi24EEEEEEENS5_IJS1C_S10_S11_S12_S13_S14_S1D_S1E_S1F_S1G_S1H_S17_S18_S1A_S19_S1I_S1J_NST_IJLi26EEEENST_IJLi27ELi28EEEENST_IJLi29EEEEEEENST_IJLi26ELi27ELi28ELi29EEEElEENSB_INS5_IJSR_SP_SP_SR_SG_SG_S2D_S2F_EEENS5_IJSU_SV_SW_SY_SX_SZ_S11_S10_EEENS5_IJS1P_SX_SY_S1Q_S11_S12_NST_IJLi9ELi10EEEES1D_EEENST_IJLi8ELi9ELi10ELi11EEEElEENS5_IJNSB_INS5_IJSK_SP_SP_NSQ_INS5_IJiS2E_NS2A_IiLi64EEEEEELb0EEES2Y_EEENS5_IJSU_SV_SW_SX_SY_EEENS5_IJS1P_SX_SY_NST_IJLi5ELi6ELi7EEEENST_IJLi8ELi9ELi10EEEEEEENST_IJLi5ELi6ELi7ELi8ELi9ELi10EEEElEEEEES35_NS_31BlockToCTileMap_M00_N00_M01_N01ILi128ELi128ES1Y_Lb0EEENS1_30ComputePtrOffsetOfStridedBatchILi1ELi1ELi1EvEELb1ELb0EEEvPKT0_S3D_T1_PT2_T3_T4_T5_iT6_T7_T8_T9_T10_T11_.num_named_barrier, 0
	.set _ZN2ck16tensor_operation6device12_GLOBAL__N_137kernel_grouped_conv_fwd_dl_multiple_dINS_32GridwiseGemmDlMultipleD_km_kn_mnILi256EDF16_fNS_5TupleIJDF16_EEEDF16_NS0_12element_wise11PassThroughES8_NS7_7AddReluELNS_25InMemoryDataOperationEnumE0ENS_16TensorDescriptorINS5_IJNS_5EmbedINS5_IJiiiiiEEESD_Lb0EEENS_11PassThroughIiEENS_3PadIiiiLb0EEESI_SI_SG_SG_NSC_INS5_IJiiEEESJ_Lb0EEESK_SK_SG_NS_23Merge_v2_magic_divisionINS5_IJiiiiEEEEESN_NS_8RightPadIiiLb0EEESP_NS_7UnMergeISJ_Lb0EEESG_EEENS5_IJNS_8SequenceIJLi0EEEENST_IJLi1EEEENST_IJLi2EEEENST_IJLi3EEEENST_IJLi4EEEENST_IJLi5EEEENST_IJLi6EEEENST_IJLi7EEEENST_IJLi8EEEENST_IJLi9EEEENST_IJLi10EEEENST_IJLi11ELi13ELi15ELi17EEEENST_IJLi12ELi14ELi16ELi18EEEENST_IJLi19EEEENST_IJLi20EEEENST_IJLi22EEEENST_IJLi21EEEEEEENS5_IJNST_IJLi1ELi2ELi3ELi4ELi5EEEES10_S11_S12_S13_S14_NST_IJLi11EEEENST_IJLi12ELi13EEEENST_IJLi14ELi15EEEENST_IJLi16ELi17EEEENST_IJLi18EEEES17_S18_S1A_S19_NST_IJLi23ELi24EEEENST_IJLi25EEEEEEENST_IJLi23ELi25ELi24EEEElEENSB_INS5_IJSR_SP_SP_SR_SG_EEENS5_IJSU_SV_SW_SY_SX_EEENS5_IJNST_IJLi1ELi2EEEESX_SY_NST_IJLi5ELi6EEEES11_EEENST_IJLi5ELi7ELi6EEEElEENSB_INS5_IJSK_SP_SP_EEENS5_IJSU_SV_SW_EEENS5_IJS1P_SX_SY_EEENST_IJLi3ELi4EEEElEELi128ELi128ELi16ELi2ELi4ELi4ELi1ENST_IJLi8ELi2EEEES1Z_NST_IJLi8ELi1ELi1ELi2EEEENST_IJLi2ELi1ELi128ELi1EEEENST_IJLi1ELi2ELi0ELi3EEEES22_NST_IJLi4ELi1ELi1ELi2EEEES22_NST_IJLi1ELi1ELi1ELi2EEEES20_S21_S22_S22_S23_S22_S24_NST_IJLi0ELi1ELi2ELi3ELi4ELi5EEEELi5ELi4EEEDF16_NS5_IJPKDF16_EEEDF16_S8_S8_S9_NSB_INS5_IJSE_SG_SI_SI_SI_SG_SG_SK_SK_SK_SG_SN_SN_SP_SP_SR_SG_SG_NSQ_INS5_IJiNS_17integral_constantIiLi128EEEEEELb0EEENSF_INS2A_IiLi2EEEEEEEENS5_IJSU_SV_SW_SX_SY_SZ_S10_S11_S12_S13_S14_S15_S16_S17_S18_S19_S1A_NST_IJLi23EEEES1J_NST_IJLi24EEEEEEENS5_IJS1C_S10_S11_S12_S13_S14_S1D_S1E_S1F_S1G_S1H_S17_S18_S1A_S19_S1I_S1J_NST_IJLi26EEEENST_IJLi27ELi28EEEENST_IJLi29EEEEEEENST_IJLi26ELi27ELi28ELi29EEEElEENSB_INS5_IJSR_SP_SP_SR_SG_SG_S2D_S2F_EEENS5_IJSU_SV_SW_SY_SX_SZ_S11_S10_EEENS5_IJS1P_SX_SY_S1Q_S11_S12_NST_IJLi9ELi10EEEES1D_EEENST_IJLi8ELi9ELi10ELi11EEEElEENS5_IJNSB_INS5_IJSK_SP_SP_NSQ_INS5_IJiS2E_NS2A_IiLi64EEEEEELb0EEES2Y_EEENS5_IJSU_SV_SW_SX_SY_EEENS5_IJS1P_SX_SY_NST_IJLi5ELi6ELi7EEEENST_IJLi8ELi9ELi10EEEEEEENST_IJLi5ELi6ELi7ELi8ELi9ELi10EEEElEEEEES35_NS_31BlockToCTileMap_M00_N00_M01_N01ILi128ELi128ES1Y_Lb0EEENS1_30ComputePtrOffsetOfStridedBatchILi1ELi1ELi1EvEELb1ELb0EEEvPKT0_S3D_T1_PT2_T3_T4_T5_iT6_T7_T8_T9_T10_T11_.private_seg_size, 0
	.set _ZN2ck16tensor_operation6device12_GLOBAL__N_137kernel_grouped_conv_fwd_dl_multiple_dINS_32GridwiseGemmDlMultipleD_km_kn_mnILi256EDF16_fNS_5TupleIJDF16_EEEDF16_NS0_12element_wise11PassThroughES8_NS7_7AddReluELNS_25InMemoryDataOperationEnumE0ENS_16TensorDescriptorINS5_IJNS_5EmbedINS5_IJiiiiiEEESD_Lb0EEENS_11PassThroughIiEENS_3PadIiiiLb0EEESI_SI_SG_SG_NSC_INS5_IJiiEEESJ_Lb0EEESK_SK_SG_NS_23Merge_v2_magic_divisionINS5_IJiiiiEEEEESN_NS_8RightPadIiiLb0EEESP_NS_7UnMergeISJ_Lb0EEESG_EEENS5_IJNS_8SequenceIJLi0EEEENST_IJLi1EEEENST_IJLi2EEEENST_IJLi3EEEENST_IJLi4EEEENST_IJLi5EEEENST_IJLi6EEEENST_IJLi7EEEENST_IJLi8EEEENST_IJLi9EEEENST_IJLi10EEEENST_IJLi11ELi13ELi15ELi17EEEENST_IJLi12ELi14ELi16ELi18EEEENST_IJLi19EEEENST_IJLi20EEEENST_IJLi22EEEENST_IJLi21EEEEEEENS5_IJNST_IJLi1ELi2ELi3ELi4ELi5EEEES10_S11_S12_S13_S14_NST_IJLi11EEEENST_IJLi12ELi13EEEENST_IJLi14ELi15EEEENST_IJLi16ELi17EEEENST_IJLi18EEEES17_S18_S1A_S19_NST_IJLi23ELi24EEEENST_IJLi25EEEEEEENST_IJLi23ELi25ELi24EEEElEENSB_INS5_IJSR_SP_SP_SR_SG_EEENS5_IJSU_SV_SW_SY_SX_EEENS5_IJNST_IJLi1ELi2EEEESX_SY_NST_IJLi5ELi6EEEES11_EEENST_IJLi5ELi7ELi6EEEElEENSB_INS5_IJSK_SP_SP_EEENS5_IJSU_SV_SW_EEENS5_IJS1P_SX_SY_EEENST_IJLi3ELi4EEEElEELi128ELi128ELi16ELi2ELi4ELi4ELi1ENST_IJLi8ELi2EEEES1Z_NST_IJLi8ELi1ELi1ELi2EEEENST_IJLi2ELi1ELi128ELi1EEEENST_IJLi1ELi2ELi0ELi3EEEES22_NST_IJLi4ELi1ELi1ELi2EEEES22_NST_IJLi1ELi1ELi1ELi2EEEES20_S21_S22_S22_S23_S22_S24_NST_IJLi0ELi1ELi2ELi3ELi4ELi5EEEELi5ELi4EEEDF16_NS5_IJPKDF16_EEEDF16_S8_S8_S9_NSB_INS5_IJSE_SG_SI_SI_SI_SG_SG_SK_SK_SK_SG_SN_SN_SP_SP_SR_SG_SG_NSQ_INS5_IJiNS_17integral_constantIiLi128EEEEEELb0EEENSF_INS2A_IiLi2EEEEEEEENS5_IJSU_SV_SW_SX_SY_SZ_S10_S11_S12_S13_S14_S15_S16_S17_S18_S19_S1A_NST_IJLi23EEEES1J_NST_IJLi24EEEEEEENS5_IJS1C_S10_S11_S12_S13_S14_S1D_S1E_S1F_S1G_S1H_S17_S18_S1A_S19_S1I_S1J_NST_IJLi26EEEENST_IJLi27ELi28EEEENST_IJLi29EEEEEEENST_IJLi26ELi27ELi28ELi29EEEElEENSB_INS5_IJSR_SP_SP_SR_SG_SG_S2D_S2F_EEENS5_IJSU_SV_SW_SY_SX_SZ_S11_S10_EEENS5_IJS1P_SX_SY_S1Q_S11_S12_NST_IJLi9ELi10EEEES1D_EEENST_IJLi8ELi9ELi10ELi11EEEElEENS5_IJNSB_INS5_IJSK_SP_SP_NSQ_INS5_IJiS2E_NS2A_IiLi64EEEEEELb0EEES2Y_EEENS5_IJSU_SV_SW_SX_SY_EEENS5_IJS1P_SX_SY_NST_IJLi5ELi6ELi7EEEENST_IJLi8ELi9ELi10EEEEEEENST_IJLi5ELi6ELi7ELi8ELi9ELi10EEEElEEEEES35_NS_31BlockToCTileMap_M00_N00_M01_N01ILi128ELi128ES1Y_Lb0EEENS1_30ComputePtrOffsetOfStridedBatchILi1ELi1ELi1EvEELb1ELb0EEEvPKT0_S3D_T1_PT2_T3_T4_T5_iT6_T7_T8_T9_T10_T11_.uses_vcc, 1
	.set _ZN2ck16tensor_operation6device12_GLOBAL__N_137kernel_grouped_conv_fwd_dl_multiple_dINS_32GridwiseGemmDlMultipleD_km_kn_mnILi256EDF16_fNS_5TupleIJDF16_EEEDF16_NS0_12element_wise11PassThroughES8_NS7_7AddReluELNS_25InMemoryDataOperationEnumE0ENS_16TensorDescriptorINS5_IJNS_5EmbedINS5_IJiiiiiEEESD_Lb0EEENS_11PassThroughIiEENS_3PadIiiiLb0EEESI_SI_SG_SG_NSC_INS5_IJiiEEESJ_Lb0EEESK_SK_SG_NS_23Merge_v2_magic_divisionINS5_IJiiiiEEEEESN_NS_8RightPadIiiLb0EEESP_NS_7UnMergeISJ_Lb0EEESG_EEENS5_IJNS_8SequenceIJLi0EEEENST_IJLi1EEEENST_IJLi2EEEENST_IJLi3EEEENST_IJLi4EEEENST_IJLi5EEEENST_IJLi6EEEENST_IJLi7EEEENST_IJLi8EEEENST_IJLi9EEEENST_IJLi10EEEENST_IJLi11ELi13ELi15ELi17EEEENST_IJLi12ELi14ELi16ELi18EEEENST_IJLi19EEEENST_IJLi20EEEENST_IJLi22EEEENST_IJLi21EEEEEEENS5_IJNST_IJLi1ELi2ELi3ELi4ELi5EEEES10_S11_S12_S13_S14_NST_IJLi11EEEENST_IJLi12ELi13EEEENST_IJLi14ELi15EEEENST_IJLi16ELi17EEEENST_IJLi18EEEES17_S18_S1A_S19_NST_IJLi23ELi24EEEENST_IJLi25EEEEEEENST_IJLi23ELi25ELi24EEEElEENSB_INS5_IJSR_SP_SP_SR_SG_EEENS5_IJSU_SV_SW_SY_SX_EEENS5_IJNST_IJLi1ELi2EEEESX_SY_NST_IJLi5ELi6EEEES11_EEENST_IJLi5ELi7ELi6EEEElEENSB_INS5_IJSK_SP_SP_EEENS5_IJSU_SV_SW_EEENS5_IJS1P_SX_SY_EEENST_IJLi3ELi4EEEElEELi128ELi128ELi16ELi2ELi4ELi4ELi1ENST_IJLi8ELi2EEEES1Z_NST_IJLi8ELi1ELi1ELi2EEEENST_IJLi2ELi1ELi128ELi1EEEENST_IJLi1ELi2ELi0ELi3EEEES22_NST_IJLi4ELi1ELi1ELi2EEEES22_NST_IJLi1ELi1ELi1ELi2EEEES20_S21_S22_S22_S23_S22_S24_NST_IJLi0ELi1ELi2ELi3ELi4ELi5EEEELi5ELi4EEEDF16_NS5_IJPKDF16_EEEDF16_S8_S8_S9_NSB_INS5_IJSE_SG_SI_SI_SI_SG_SG_SK_SK_SK_SG_SN_SN_SP_SP_SR_SG_SG_NSQ_INS5_IJiNS_17integral_constantIiLi128EEEEEELb0EEENSF_INS2A_IiLi2EEEEEEEENS5_IJSU_SV_SW_SX_SY_SZ_S10_S11_S12_S13_S14_S15_S16_S17_S18_S19_S1A_NST_IJLi23EEEES1J_NST_IJLi24EEEEEEENS5_IJS1C_S10_S11_S12_S13_S14_S1D_S1E_S1F_S1G_S1H_S17_S18_S1A_S19_S1I_S1J_NST_IJLi26EEEENST_IJLi27ELi28EEEENST_IJLi29EEEEEEENST_IJLi26ELi27ELi28ELi29EEEElEENSB_INS5_IJSR_SP_SP_SR_SG_SG_S2D_S2F_EEENS5_IJSU_SV_SW_SY_SX_SZ_S11_S10_EEENS5_IJS1P_SX_SY_S1Q_S11_S12_NST_IJLi9ELi10EEEES1D_EEENST_IJLi8ELi9ELi10ELi11EEEElEENS5_IJNSB_INS5_IJSK_SP_SP_NSQ_INS5_IJiS2E_NS2A_IiLi64EEEEEELb0EEES2Y_EEENS5_IJSU_SV_SW_SX_SY_EEENS5_IJS1P_SX_SY_NST_IJLi5ELi6ELi7EEEENST_IJLi8ELi9ELi10EEEEEEENST_IJLi5ELi6ELi7ELi8ELi9ELi10EEEElEEEEES35_NS_31BlockToCTileMap_M00_N00_M01_N01ILi128ELi128ES1Y_Lb0EEENS1_30ComputePtrOffsetOfStridedBatchILi1ELi1ELi1EvEELb1ELb0EEEvPKT0_S3D_T1_PT2_T3_T4_T5_iT6_T7_T8_T9_T10_T11_.uses_flat_scratch, 0
	.set _ZN2ck16tensor_operation6device12_GLOBAL__N_137kernel_grouped_conv_fwd_dl_multiple_dINS_32GridwiseGemmDlMultipleD_km_kn_mnILi256EDF16_fNS_5TupleIJDF16_EEEDF16_NS0_12element_wise11PassThroughES8_NS7_7AddReluELNS_25InMemoryDataOperationEnumE0ENS_16TensorDescriptorINS5_IJNS_5EmbedINS5_IJiiiiiEEESD_Lb0EEENS_11PassThroughIiEENS_3PadIiiiLb0EEESI_SI_SG_SG_NSC_INS5_IJiiEEESJ_Lb0EEESK_SK_SG_NS_23Merge_v2_magic_divisionINS5_IJiiiiEEEEESN_NS_8RightPadIiiLb0EEESP_NS_7UnMergeISJ_Lb0EEESG_EEENS5_IJNS_8SequenceIJLi0EEEENST_IJLi1EEEENST_IJLi2EEEENST_IJLi3EEEENST_IJLi4EEEENST_IJLi5EEEENST_IJLi6EEEENST_IJLi7EEEENST_IJLi8EEEENST_IJLi9EEEENST_IJLi10EEEENST_IJLi11ELi13ELi15ELi17EEEENST_IJLi12ELi14ELi16ELi18EEEENST_IJLi19EEEENST_IJLi20EEEENST_IJLi22EEEENST_IJLi21EEEEEEENS5_IJNST_IJLi1ELi2ELi3ELi4ELi5EEEES10_S11_S12_S13_S14_NST_IJLi11EEEENST_IJLi12ELi13EEEENST_IJLi14ELi15EEEENST_IJLi16ELi17EEEENST_IJLi18EEEES17_S18_S1A_S19_NST_IJLi23ELi24EEEENST_IJLi25EEEEEEENST_IJLi23ELi25ELi24EEEElEENSB_INS5_IJSR_SP_SP_SR_SG_EEENS5_IJSU_SV_SW_SY_SX_EEENS5_IJNST_IJLi1ELi2EEEESX_SY_NST_IJLi5ELi6EEEES11_EEENST_IJLi5ELi7ELi6EEEElEENSB_INS5_IJSK_SP_SP_EEENS5_IJSU_SV_SW_EEENS5_IJS1P_SX_SY_EEENST_IJLi3ELi4EEEElEELi128ELi128ELi16ELi2ELi4ELi4ELi1ENST_IJLi8ELi2EEEES1Z_NST_IJLi8ELi1ELi1ELi2EEEENST_IJLi2ELi1ELi128ELi1EEEENST_IJLi1ELi2ELi0ELi3EEEES22_NST_IJLi4ELi1ELi1ELi2EEEES22_NST_IJLi1ELi1ELi1ELi2EEEES20_S21_S22_S22_S23_S22_S24_NST_IJLi0ELi1ELi2ELi3ELi4ELi5EEEELi5ELi4EEEDF16_NS5_IJPKDF16_EEEDF16_S8_S8_S9_NSB_INS5_IJSE_SG_SI_SI_SI_SG_SG_SK_SK_SK_SG_SN_SN_SP_SP_SR_SG_SG_NSQ_INS5_IJiNS_17integral_constantIiLi128EEEEEELb0EEENSF_INS2A_IiLi2EEEEEEEENS5_IJSU_SV_SW_SX_SY_SZ_S10_S11_S12_S13_S14_S15_S16_S17_S18_S19_S1A_NST_IJLi23EEEES1J_NST_IJLi24EEEEEEENS5_IJS1C_S10_S11_S12_S13_S14_S1D_S1E_S1F_S1G_S1H_S17_S18_S1A_S19_S1I_S1J_NST_IJLi26EEEENST_IJLi27ELi28EEEENST_IJLi29EEEEEEENST_IJLi26ELi27ELi28ELi29EEEElEENSB_INS5_IJSR_SP_SP_SR_SG_SG_S2D_S2F_EEENS5_IJSU_SV_SW_SY_SX_SZ_S11_S10_EEENS5_IJS1P_SX_SY_S1Q_S11_S12_NST_IJLi9ELi10EEEES1D_EEENST_IJLi8ELi9ELi10ELi11EEEElEENS5_IJNSB_INS5_IJSK_SP_SP_NSQ_INS5_IJiS2E_NS2A_IiLi64EEEEEELb0EEES2Y_EEENS5_IJSU_SV_SW_SX_SY_EEENS5_IJS1P_SX_SY_NST_IJLi5ELi6ELi7EEEENST_IJLi8ELi9ELi10EEEEEEENST_IJLi5ELi6ELi7ELi8ELi9ELi10EEEElEEEEES35_NS_31BlockToCTileMap_M00_N00_M01_N01ILi128ELi128ES1Y_Lb0EEENS1_30ComputePtrOffsetOfStridedBatchILi1ELi1ELi1EvEELb1ELb0EEEvPKT0_S3D_T1_PT2_T3_T4_T5_iT6_T7_T8_T9_T10_T11_.has_dyn_sized_stack, 0
	.set _ZN2ck16tensor_operation6device12_GLOBAL__N_137kernel_grouped_conv_fwd_dl_multiple_dINS_32GridwiseGemmDlMultipleD_km_kn_mnILi256EDF16_fNS_5TupleIJDF16_EEEDF16_NS0_12element_wise11PassThroughES8_NS7_7AddReluELNS_25InMemoryDataOperationEnumE0ENS_16TensorDescriptorINS5_IJNS_5EmbedINS5_IJiiiiiEEESD_Lb0EEENS_11PassThroughIiEENS_3PadIiiiLb0EEESI_SI_SG_SG_NSC_INS5_IJiiEEESJ_Lb0EEESK_SK_SG_NS_23Merge_v2_magic_divisionINS5_IJiiiiEEEEESN_NS_8RightPadIiiLb0EEESP_NS_7UnMergeISJ_Lb0EEESG_EEENS5_IJNS_8SequenceIJLi0EEEENST_IJLi1EEEENST_IJLi2EEEENST_IJLi3EEEENST_IJLi4EEEENST_IJLi5EEEENST_IJLi6EEEENST_IJLi7EEEENST_IJLi8EEEENST_IJLi9EEEENST_IJLi10EEEENST_IJLi11ELi13ELi15ELi17EEEENST_IJLi12ELi14ELi16ELi18EEEENST_IJLi19EEEENST_IJLi20EEEENST_IJLi22EEEENST_IJLi21EEEEEEENS5_IJNST_IJLi1ELi2ELi3ELi4ELi5EEEES10_S11_S12_S13_S14_NST_IJLi11EEEENST_IJLi12ELi13EEEENST_IJLi14ELi15EEEENST_IJLi16ELi17EEEENST_IJLi18EEEES17_S18_S1A_S19_NST_IJLi23ELi24EEEENST_IJLi25EEEEEEENST_IJLi23ELi25ELi24EEEElEENSB_INS5_IJSR_SP_SP_SR_SG_EEENS5_IJSU_SV_SW_SY_SX_EEENS5_IJNST_IJLi1ELi2EEEESX_SY_NST_IJLi5ELi6EEEES11_EEENST_IJLi5ELi7ELi6EEEElEENSB_INS5_IJSK_SP_SP_EEENS5_IJSU_SV_SW_EEENS5_IJS1P_SX_SY_EEENST_IJLi3ELi4EEEElEELi128ELi128ELi16ELi2ELi4ELi4ELi1ENST_IJLi8ELi2EEEES1Z_NST_IJLi8ELi1ELi1ELi2EEEENST_IJLi2ELi1ELi128ELi1EEEENST_IJLi1ELi2ELi0ELi3EEEES22_NST_IJLi4ELi1ELi1ELi2EEEES22_NST_IJLi1ELi1ELi1ELi2EEEES20_S21_S22_S22_S23_S22_S24_NST_IJLi0ELi1ELi2ELi3ELi4ELi5EEEELi5ELi4EEEDF16_NS5_IJPKDF16_EEEDF16_S8_S8_S9_NSB_INS5_IJSE_SG_SI_SI_SI_SG_SG_SK_SK_SK_SG_SN_SN_SP_SP_SR_SG_SG_NSQ_INS5_IJiNS_17integral_constantIiLi128EEEEEELb0EEENSF_INS2A_IiLi2EEEEEEEENS5_IJSU_SV_SW_SX_SY_SZ_S10_S11_S12_S13_S14_S15_S16_S17_S18_S19_S1A_NST_IJLi23EEEES1J_NST_IJLi24EEEEEEENS5_IJS1C_S10_S11_S12_S13_S14_S1D_S1E_S1F_S1G_S1H_S17_S18_S1A_S19_S1I_S1J_NST_IJLi26EEEENST_IJLi27ELi28EEEENST_IJLi29EEEEEEENST_IJLi26ELi27ELi28ELi29EEEElEENSB_INS5_IJSR_SP_SP_SR_SG_SG_S2D_S2F_EEENS5_IJSU_SV_SW_SY_SX_SZ_S11_S10_EEENS5_IJS1P_SX_SY_S1Q_S11_S12_NST_IJLi9ELi10EEEES1D_EEENST_IJLi8ELi9ELi10ELi11EEEElEENS5_IJNSB_INS5_IJSK_SP_SP_NSQ_INS5_IJiS2E_NS2A_IiLi64EEEEEELb0EEES2Y_EEENS5_IJSU_SV_SW_SX_SY_EEENS5_IJS1P_SX_SY_NST_IJLi5ELi6ELi7EEEENST_IJLi8ELi9ELi10EEEEEEENST_IJLi5ELi6ELi7ELi8ELi9ELi10EEEElEEEEES35_NS_31BlockToCTileMap_M00_N00_M01_N01ILi128ELi128ES1Y_Lb0EEENS1_30ComputePtrOffsetOfStridedBatchILi1ELi1ELi1EvEELb1ELb0EEEvPKT0_S3D_T1_PT2_T3_T4_T5_iT6_T7_T8_T9_T10_T11_.has_recursion, 0
	.set _ZN2ck16tensor_operation6device12_GLOBAL__N_137kernel_grouped_conv_fwd_dl_multiple_dINS_32GridwiseGemmDlMultipleD_km_kn_mnILi256EDF16_fNS_5TupleIJDF16_EEEDF16_NS0_12element_wise11PassThroughES8_NS7_7AddReluELNS_25InMemoryDataOperationEnumE0ENS_16TensorDescriptorINS5_IJNS_5EmbedINS5_IJiiiiiEEESD_Lb0EEENS_11PassThroughIiEENS_3PadIiiiLb0EEESI_SI_SG_SG_NSC_INS5_IJiiEEESJ_Lb0EEESK_SK_SG_NS_23Merge_v2_magic_divisionINS5_IJiiiiEEEEESN_NS_8RightPadIiiLb0EEESP_NS_7UnMergeISJ_Lb0EEESG_EEENS5_IJNS_8SequenceIJLi0EEEENST_IJLi1EEEENST_IJLi2EEEENST_IJLi3EEEENST_IJLi4EEEENST_IJLi5EEEENST_IJLi6EEEENST_IJLi7EEEENST_IJLi8EEEENST_IJLi9EEEENST_IJLi10EEEENST_IJLi11ELi13ELi15ELi17EEEENST_IJLi12ELi14ELi16ELi18EEEENST_IJLi19EEEENST_IJLi20EEEENST_IJLi22EEEENST_IJLi21EEEEEEENS5_IJNST_IJLi1ELi2ELi3ELi4ELi5EEEES10_S11_S12_S13_S14_NST_IJLi11EEEENST_IJLi12ELi13EEEENST_IJLi14ELi15EEEENST_IJLi16ELi17EEEENST_IJLi18EEEES17_S18_S1A_S19_NST_IJLi23ELi24EEEENST_IJLi25EEEEEEENST_IJLi23ELi25ELi24EEEElEENSB_INS5_IJSR_SP_SP_SR_SG_EEENS5_IJSU_SV_SW_SY_SX_EEENS5_IJNST_IJLi1ELi2EEEESX_SY_NST_IJLi5ELi6EEEES11_EEENST_IJLi5ELi7ELi6EEEElEENSB_INS5_IJSK_SP_SP_EEENS5_IJSU_SV_SW_EEENS5_IJS1P_SX_SY_EEENST_IJLi3ELi4EEEElEELi128ELi128ELi16ELi2ELi4ELi4ELi1ENST_IJLi8ELi2EEEES1Z_NST_IJLi8ELi1ELi1ELi2EEEENST_IJLi2ELi1ELi128ELi1EEEENST_IJLi1ELi2ELi0ELi3EEEES22_NST_IJLi4ELi1ELi1ELi2EEEES22_NST_IJLi1ELi1ELi1ELi2EEEES20_S21_S22_S22_S23_S22_S24_NST_IJLi0ELi1ELi2ELi3ELi4ELi5EEEELi5ELi4EEEDF16_NS5_IJPKDF16_EEEDF16_S8_S8_S9_NSB_INS5_IJSE_SG_SI_SI_SI_SG_SG_SK_SK_SK_SG_SN_SN_SP_SP_SR_SG_SG_NSQ_INS5_IJiNS_17integral_constantIiLi128EEEEEELb0EEENSF_INS2A_IiLi2EEEEEEEENS5_IJSU_SV_SW_SX_SY_SZ_S10_S11_S12_S13_S14_S15_S16_S17_S18_S19_S1A_NST_IJLi23EEEES1J_NST_IJLi24EEEEEEENS5_IJS1C_S10_S11_S12_S13_S14_S1D_S1E_S1F_S1G_S1H_S17_S18_S1A_S19_S1I_S1J_NST_IJLi26EEEENST_IJLi27ELi28EEEENST_IJLi29EEEEEEENST_IJLi26ELi27ELi28ELi29EEEElEENSB_INS5_IJSR_SP_SP_SR_SG_SG_S2D_S2F_EEENS5_IJSU_SV_SW_SY_SX_SZ_S11_S10_EEENS5_IJS1P_SX_SY_S1Q_S11_S12_NST_IJLi9ELi10EEEES1D_EEENST_IJLi8ELi9ELi10ELi11EEEElEENS5_IJNSB_INS5_IJSK_SP_SP_NSQ_INS5_IJiS2E_NS2A_IiLi64EEEEEELb0EEES2Y_EEENS5_IJSU_SV_SW_SX_SY_EEENS5_IJS1P_SX_SY_NST_IJLi5ELi6ELi7EEEENST_IJLi8ELi9ELi10EEEEEEENST_IJLi5ELi6ELi7ELi8ELi9ELi10EEEElEEEEES35_NS_31BlockToCTileMap_M00_N00_M01_N01ILi128ELi128ES1Y_Lb0EEENS1_30ComputePtrOffsetOfStridedBatchILi1ELi1ELi1EvEELb1ELb0EEEvPKT0_S3D_T1_PT2_T3_T4_T5_iT6_T7_T8_T9_T10_T11_.has_indirect_call, 0
	.section	.AMDGPU.csdata,"",@progbits
; Kernel info:
; codeLenInByte = 21484
; TotalNumSgprs: 85
; NumVgprs: 146
; ScratchSize: 0
; MemoryBound: 0
; FloatMode: 240
; IeeeMode: 1
; LDSByteSize: 32768 bytes/workgroup (compile time only)
; SGPRBlocks: 0
; VGPRBlocks: 18
; NumSGPRsForWavesPerEU: 85
; NumVGPRsForWavesPerEU: 146
; Occupancy: 6
; WaveLimiterHint : 0
; COMPUTE_PGM_RSRC2:SCRATCH_EN: 0
; COMPUTE_PGM_RSRC2:USER_SGPR: 6
; COMPUTE_PGM_RSRC2:TRAP_HANDLER: 0
; COMPUTE_PGM_RSRC2:TGID_X_EN: 1
; COMPUTE_PGM_RSRC2:TGID_Y_EN: 0
; COMPUTE_PGM_RSRC2:TGID_Z_EN: 0
; COMPUTE_PGM_RSRC2:TIDIG_COMP_CNT: 0
	.section	.text._ZN2ck16tensor_operation6device12_GLOBAL__N_137kernel_grouped_conv_fwd_dl_multiple_dINS_32GridwiseGemmDlMultipleD_km_kn_mnILi256EDF16_fNS_5TupleIJDF16_EEEDF16_NS0_12element_wise11PassThroughES8_NS7_7AddReluELNS_25InMemoryDataOperationEnumE0ENS_16TensorDescriptorINS5_IJNS_5EmbedINS5_IJiiiiiEEESD_Lb0EEENS_11PassThroughIiEENS_3PadIiiiLb0EEESI_SI_SG_SG_NSC_INS5_IJiiEEESJ_Lb0EEESK_SK_SG_NS_23Merge_v2_magic_divisionINS5_IJiiiiEEEEESN_NS_8RightPadIiiLb0EEESP_NS_7UnMergeISJ_Lb0EEESG_EEENS5_IJNS_8SequenceIJLi0EEEENST_IJLi1EEEENST_IJLi2EEEENST_IJLi3EEEENST_IJLi4EEEENST_IJLi5EEEENST_IJLi6EEEENST_IJLi7EEEENST_IJLi8EEEENST_IJLi9EEEENST_IJLi10EEEENST_IJLi11ELi13ELi15ELi17EEEENST_IJLi12ELi14ELi16ELi18EEEENST_IJLi19EEEENST_IJLi20EEEENST_IJLi22EEEENST_IJLi21EEEEEEENS5_IJNST_IJLi1ELi2ELi3ELi4ELi5EEEES10_S11_S12_S13_S14_NST_IJLi11EEEENST_IJLi12ELi13EEEENST_IJLi14ELi15EEEENST_IJLi16ELi17EEEENST_IJLi18EEEES17_S18_S1A_S19_NST_IJLi23ELi24EEEENST_IJLi25EEEEEEENST_IJLi23ELi25ELi24EEEElEENSB_INS5_IJSR_SP_SP_SR_SG_EEENS5_IJSU_SV_SW_SY_SX_EEENS5_IJNST_IJLi1ELi2EEEESX_SY_NST_IJLi5ELi6EEEES11_EEENST_IJLi5ELi7ELi6EEEElEENSB_INS5_IJSK_SP_SP_EEENS5_IJSU_SV_SW_EEENS5_IJS1P_SX_SY_EEENST_IJLi3ELi4EEEElEELi128ELi128ELi16ELi2ELi4ELi4ELi1ENST_IJLi8ELi2EEEES1Z_NST_IJLi8ELi1ELi1ELi2EEEENST_IJLi2ELi1ELi128ELi1EEEENST_IJLi1ELi2ELi0ELi3EEEES22_NST_IJLi4ELi1ELi1ELi2EEEES22_NST_IJLi1ELi1ELi1ELi2EEEES20_S21_S22_S22_S23_S22_S24_NST_IJLi0ELi1ELi2ELi3ELi4ELi5EEEELi5ELi4EEEDF16_NS5_IJPKDF16_EEEDF16_S8_S8_S9_NSB_INS5_IJSE_SG_SI_SI_SI_SG_SG_SK_SK_SK_SG_SN_SN_SP_SP_SR_SG_SG_NSQ_INS5_IJiNS_17integral_constantIiLi128EEEEEELb0EEENSF_INS2A_IiLi2EEEEEEEENS5_IJSU_SV_SW_SX_SY_SZ_S10_S11_S12_S13_S14_S15_S16_S17_S18_S19_S1A_NST_IJLi23EEEES1J_NST_IJLi24EEEEEEENS5_IJS1C_S10_S11_S12_S13_S14_S1D_S1E_S1F_S1G_S1H_S17_S18_S1A_S19_S1I_S1J_NST_IJLi26EEEENST_IJLi27ELi28EEEENST_IJLi29EEEEEEENST_IJLi26ELi27ELi28ELi29EEEElEENSB_INS5_IJSR_SP_SP_SR_SG_SG_S2D_S2F_EEENS5_IJSU_SV_SW_SY_SX_SZ_S11_S10_EEENS5_IJS1P_SX_SY_S1Q_S11_S12_NST_IJLi9ELi10EEEES1D_EEENST_IJLi8ELi9ELi10ELi11EEEElEENS5_IJNSB_INS5_IJSK_SP_SP_NSQ_INS5_IJiS2E_NS2A_IiLi64EEEEEELb0EEES2Y_EEENS5_IJSU_SV_SW_SX_SY_EEENS5_IJS1P_SX_SY_NST_IJLi5ELi6ELi7EEEENST_IJLi8ELi9ELi10EEEEEEENST_IJLi5ELi6ELi7ELi8ELi9ELi10EEEElEEEEES35_NS_31BlockToCTileMap_M00_N00_M01_N01ILi128ELi128ES1Y_Lb0EEENS1_30ComputePtrOffsetOfStridedBatchILi1ELi1ELi1EvEELb0ELb1EEEvPKT0_S3D_T1_PT2_T3_T4_T5_iT6_T7_T8_T9_T10_T11_,"axG",@progbits,_ZN2ck16tensor_operation6device12_GLOBAL__N_137kernel_grouped_conv_fwd_dl_multiple_dINS_32GridwiseGemmDlMultipleD_km_kn_mnILi256EDF16_fNS_5TupleIJDF16_EEEDF16_NS0_12element_wise11PassThroughES8_NS7_7AddReluELNS_25InMemoryDataOperationEnumE0ENS_16TensorDescriptorINS5_IJNS_5EmbedINS5_IJiiiiiEEESD_Lb0EEENS_11PassThroughIiEENS_3PadIiiiLb0EEESI_SI_SG_SG_NSC_INS5_IJiiEEESJ_Lb0EEESK_SK_SG_NS_23Merge_v2_magic_divisionINS5_IJiiiiEEEEESN_NS_8RightPadIiiLb0EEESP_NS_7UnMergeISJ_Lb0EEESG_EEENS5_IJNS_8SequenceIJLi0EEEENST_IJLi1EEEENST_IJLi2EEEENST_IJLi3EEEENST_IJLi4EEEENST_IJLi5EEEENST_IJLi6EEEENST_IJLi7EEEENST_IJLi8EEEENST_IJLi9EEEENST_IJLi10EEEENST_IJLi11ELi13ELi15ELi17EEEENST_IJLi12ELi14ELi16ELi18EEEENST_IJLi19EEEENST_IJLi20EEEENST_IJLi22EEEENST_IJLi21EEEEEEENS5_IJNST_IJLi1ELi2ELi3ELi4ELi5EEEES10_S11_S12_S13_S14_NST_IJLi11EEEENST_IJLi12ELi13EEEENST_IJLi14ELi15EEEENST_IJLi16ELi17EEEENST_IJLi18EEEES17_S18_S1A_S19_NST_IJLi23ELi24EEEENST_IJLi25EEEEEEENST_IJLi23ELi25ELi24EEEElEENSB_INS5_IJSR_SP_SP_SR_SG_EEENS5_IJSU_SV_SW_SY_SX_EEENS5_IJNST_IJLi1ELi2EEEESX_SY_NST_IJLi5ELi6EEEES11_EEENST_IJLi5ELi7ELi6EEEElEENSB_INS5_IJSK_SP_SP_EEENS5_IJSU_SV_SW_EEENS5_IJS1P_SX_SY_EEENST_IJLi3ELi4EEEElEELi128ELi128ELi16ELi2ELi4ELi4ELi1ENST_IJLi8ELi2EEEES1Z_NST_IJLi8ELi1ELi1ELi2EEEENST_IJLi2ELi1ELi128ELi1EEEENST_IJLi1ELi2ELi0ELi3EEEES22_NST_IJLi4ELi1ELi1ELi2EEEES22_NST_IJLi1ELi1ELi1ELi2EEEES20_S21_S22_S22_S23_S22_S24_NST_IJLi0ELi1ELi2ELi3ELi4ELi5EEEELi5ELi4EEEDF16_NS5_IJPKDF16_EEEDF16_S8_S8_S9_NSB_INS5_IJSE_SG_SI_SI_SI_SG_SG_SK_SK_SK_SG_SN_SN_SP_SP_SR_SG_SG_NSQ_INS5_IJiNS_17integral_constantIiLi128EEEEEELb0EEENSF_INS2A_IiLi2EEEEEEEENS5_IJSU_SV_SW_SX_SY_SZ_S10_S11_S12_S13_S14_S15_S16_S17_S18_S19_S1A_NST_IJLi23EEEES1J_NST_IJLi24EEEEEEENS5_IJS1C_S10_S11_S12_S13_S14_S1D_S1E_S1F_S1G_S1H_S17_S18_S1A_S19_S1I_S1J_NST_IJLi26EEEENST_IJLi27ELi28EEEENST_IJLi29EEEEEEENST_IJLi26ELi27ELi28ELi29EEEElEENSB_INS5_IJSR_SP_SP_SR_SG_SG_S2D_S2F_EEENS5_IJSU_SV_SW_SY_SX_SZ_S11_S10_EEENS5_IJS1P_SX_SY_S1Q_S11_S12_NST_IJLi9ELi10EEEES1D_EEENST_IJLi8ELi9ELi10ELi11EEEElEENS5_IJNSB_INS5_IJSK_SP_SP_NSQ_INS5_IJiS2E_NS2A_IiLi64EEEEEELb0EEES2Y_EEENS5_IJSU_SV_SW_SX_SY_EEENS5_IJS1P_SX_SY_NST_IJLi5ELi6ELi7EEEENST_IJLi8ELi9ELi10EEEEEEENST_IJLi5ELi6ELi7ELi8ELi9ELi10EEEElEEEEES35_NS_31BlockToCTileMap_M00_N00_M01_N01ILi128ELi128ES1Y_Lb0EEENS1_30ComputePtrOffsetOfStridedBatchILi1ELi1ELi1EvEELb0ELb1EEEvPKT0_S3D_T1_PT2_T3_T4_T5_iT6_T7_T8_T9_T10_T11_,comdat
	.globl	_ZN2ck16tensor_operation6device12_GLOBAL__N_137kernel_grouped_conv_fwd_dl_multiple_dINS_32GridwiseGemmDlMultipleD_km_kn_mnILi256EDF16_fNS_5TupleIJDF16_EEEDF16_NS0_12element_wise11PassThroughES8_NS7_7AddReluELNS_25InMemoryDataOperationEnumE0ENS_16TensorDescriptorINS5_IJNS_5EmbedINS5_IJiiiiiEEESD_Lb0EEENS_11PassThroughIiEENS_3PadIiiiLb0EEESI_SI_SG_SG_NSC_INS5_IJiiEEESJ_Lb0EEESK_SK_SG_NS_23Merge_v2_magic_divisionINS5_IJiiiiEEEEESN_NS_8RightPadIiiLb0EEESP_NS_7UnMergeISJ_Lb0EEESG_EEENS5_IJNS_8SequenceIJLi0EEEENST_IJLi1EEEENST_IJLi2EEEENST_IJLi3EEEENST_IJLi4EEEENST_IJLi5EEEENST_IJLi6EEEENST_IJLi7EEEENST_IJLi8EEEENST_IJLi9EEEENST_IJLi10EEEENST_IJLi11ELi13ELi15ELi17EEEENST_IJLi12ELi14ELi16ELi18EEEENST_IJLi19EEEENST_IJLi20EEEENST_IJLi22EEEENST_IJLi21EEEEEEENS5_IJNST_IJLi1ELi2ELi3ELi4ELi5EEEES10_S11_S12_S13_S14_NST_IJLi11EEEENST_IJLi12ELi13EEEENST_IJLi14ELi15EEEENST_IJLi16ELi17EEEENST_IJLi18EEEES17_S18_S1A_S19_NST_IJLi23ELi24EEEENST_IJLi25EEEEEEENST_IJLi23ELi25ELi24EEEElEENSB_INS5_IJSR_SP_SP_SR_SG_EEENS5_IJSU_SV_SW_SY_SX_EEENS5_IJNST_IJLi1ELi2EEEESX_SY_NST_IJLi5ELi6EEEES11_EEENST_IJLi5ELi7ELi6EEEElEENSB_INS5_IJSK_SP_SP_EEENS5_IJSU_SV_SW_EEENS5_IJS1P_SX_SY_EEENST_IJLi3ELi4EEEElEELi128ELi128ELi16ELi2ELi4ELi4ELi1ENST_IJLi8ELi2EEEES1Z_NST_IJLi8ELi1ELi1ELi2EEEENST_IJLi2ELi1ELi128ELi1EEEENST_IJLi1ELi2ELi0ELi3EEEES22_NST_IJLi4ELi1ELi1ELi2EEEES22_NST_IJLi1ELi1ELi1ELi2EEEES20_S21_S22_S22_S23_S22_S24_NST_IJLi0ELi1ELi2ELi3ELi4ELi5EEEELi5ELi4EEEDF16_NS5_IJPKDF16_EEEDF16_S8_S8_S9_NSB_INS5_IJSE_SG_SI_SI_SI_SG_SG_SK_SK_SK_SG_SN_SN_SP_SP_SR_SG_SG_NSQ_INS5_IJiNS_17integral_constantIiLi128EEEEEELb0EEENSF_INS2A_IiLi2EEEEEEEENS5_IJSU_SV_SW_SX_SY_SZ_S10_S11_S12_S13_S14_S15_S16_S17_S18_S19_S1A_NST_IJLi23EEEES1J_NST_IJLi24EEEEEEENS5_IJS1C_S10_S11_S12_S13_S14_S1D_S1E_S1F_S1G_S1H_S17_S18_S1A_S19_S1I_S1J_NST_IJLi26EEEENST_IJLi27ELi28EEEENST_IJLi29EEEEEEENST_IJLi26ELi27ELi28ELi29EEEElEENSB_INS5_IJSR_SP_SP_SR_SG_SG_S2D_S2F_EEENS5_IJSU_SV_SW_SY_SX_SZ_S11_S10_EEENS5_IJS1P_SX_SY_S1Q_S11_S12_NST_IJLi9ELi10EEEES1D_EEENST_IJLi8ELi9ELi10ELi11EEEElEENS5_IJNSB_INS5_IJSK_SP_SP_NSQ_INS5_IJiS2E_NS2A_IiLi64EEEEEELb0EEES2Y_EEENS5_IJSU_SV_SW_SX_SY_EEENS5_IJS1P_SX_SY_NST_IJLi5ELi6ELi7EEEENST_IJLi8ELi9ELi10EEEEEEENST_IJLi5ELi6ELi7ELi8ELi9ELi10EEEElEEEEES35_NS_31BlockToCTileMap_M00_N00_M01_N01ILi128ELi128ES1Y_Lb0EEENS1_30ComputePtrOffsetOfStridedBatchILi1ELi1ELi1EvEELb0ELb1EEEvPKT0_S3D_T1_PT2_T3_T4_T5_iT6_T7_T8_T9_T10_T11_ ; -- Begin function _ZN2ck16tensor_operation6device12_GLOBAL__N_137kernel_grouped_conv_fwd_dl_multiple_dINS_32GridwiseGemmDlMultipleD_km_kn_mnILi256EDF16_fNS_5TupleIJDF16_EEEDF16_NS0_12element_wise11PassThroughES8_NS7_7AddReluELNS_25InMemoryDataOperationEnumE0ENS_16TensorDescriptorINS5_IJNS_5EmbedINS5_IJiiiiiEEESD_Lb0EEENS_11PassThroughIiEENS_3PadIiiiLb0EEESI_SI_SG_SG_NSC_INS5_IJiiEEESJ_Lb0EEESK_SK_SG_NS_23Merge_v2_magic_divisionINS5_IJiiiiEEEEESN_NS_8RightPadIiiLb0EEESP_NS_7UnMergeISJ_Lb0EEESG_EEENS5_IJNS_8SequenceIJLi0EEEENST_IJLi1EEEENST_IJLi2EEEENST_IJLi3EEEENST_IJLi4EEEENST_IJLi5EEEENST_IJLi6EEEENST_IJLi7EEEENST_IJLi8EEEENST_IJLi9EEEENST_IJLi10EEEENST_IJLi11ELi13ELi15ELi17EEEENST_IJLi12ELi14ELi16ELi18EEEENST_IJLi19EEEENST_IJLi20EEEENST_IJLi22EEEENST_IJLi21EEEEEEENS5_IJNST_IJLi1ELi2ELi3ELi4ELi5EEEES10_S11_S12_S13_S14_NST_IJLi11EEEENST_IJLi12ELi13EEEENST_IJLi14ELi15EEEENST_IJLi16ELi17EEEENST_IJLi18EEEES17_S18_S1A_S19_NST_IJLi23ELi24EEEENST_IJLi25EEEEEEENST_IJLi23ELi25ELi24EEEElEENSB_INS5_IJSR_SP_SP_SR_SG_EEENS5_IJSU_SV_SW_SY_SX_EEENS5_IJNST_IJLi1ELi2EEEESX_SY_NST_IJLi5ELi6EEEES11_EEENST_IJLi5ELi7ELi6EEEElEENSB_INS5_IJSK_SP_SP_EEENS5_IJSU_SV_SW_EEENS5_IJS1P_SX_SY_EEENST_IJLi3ELi4EEEElEELi128ELi128ELi16ELi2ELi4ELi4ELi1ENST_IJLi8ELi2EEEES1Z_NST_IJLi8ELi1ELi1ELi2EEEENST_IJLi2ELi1ELi128ELi1EEEENST_IJLi1ELi2ELi0ELi3EEEES22_NST_IJLi4ELi1ELi1ELi2EEEES22_NST_IJLi1ELi1ELi1ELi2EEEES20_S21_S22_S22_S23_S22_S24_NST_IJLi0ELi1ELi2ELi3ELi4ELi5EEEELi5ELi4EEEDF16_NS5_IJPKDF16_EEEDF16_S8_S8_S9_NSB_INS5_IJSE_SG_SI_SI_SI_SG_SG_SK_SK_SK_SG_SN_SN_SP_SP_SR_SG_SG_NSQ_INS5_IJiNS_17integral_constantIiLi128EEEEEELb0EEENSF_INS2A_IiLi2EEEEEEEENS5_IJSU_SV_SW_SX_SY_SZ_S10_S11_S12_S13_S14_S15_S16_S17_S18_S19_S1A_NST_IJLi23EEEES1J_NST_IJLi24EEEEEEENS5_IJS1C_S10_S11_S12_S13_S14_S1D_S1E_S1F_S1G_S1H_S17_S18_S1A_S19_S1I_S1J_NST_IJLi26EEEENST_IJLi27ELi28EEEENST_IJLi29EEEEEEENST_IJLi26ELi27ELi28ELi29EEEElEENSB_INS5_IJSR_SP_SP_SR_SG_SG_S2D_S2F_EEENS5_IJSU_SV_SW_SY_SX_SZ_S11_S10_EEENS5_IJS1P_SX_SY_S1Q_S11_S12_NST_IJLi9ELi10EEEES1D_EEENST_IJLi8ELi9ELi10ELi11EEEElEENS5_IJNSB_INS5_IJSK_SP_SP_NSQ_INS5_IJiS2E_NS2A_IiLi64EEEEEELb0EEES2Y_EEENS5_IJSU_SV_SW_SX_SY_EEENS5_IJS1P_SX_SY_NST_IJLi5ELi6ELi7EEEENST_IJLi8ELi9ELi10EEEEEEENST_IJLi5ELi6ELi7ELi8ELi9ELi10EEEElEEEEES35_NS_31BlockToCTileMap_M00_N00_M01_N01ILi128ELi128ES1Y_Lb0EEENS1_30ComputePtrOffsetOfStridedBatchILi1ELi1ELi1EvEELb0ELb1EEEvPKT0_S3D_T1_PT2_T3_T4_T5_iT6_T7_T8_T9_T10_T11_
	.p2align	8
	.type	_ZN2ck16tensor_operation6device12_GLOBAL__N_137kernel_grouped_conv_fwd_dl_multiple_dINS_32GridwiseGemmDlMultipleD_km_kn_mnILi256EDF16_fNS_5TupleIJDF16_EEEDF16_NS0_12element_wise11PassThroughES8_NS7_7AddReluELNS_25InMemoryDataOperationEnumE0ENS_16TensorDescriptorINS5_IJNS_5EmbedINS5_IJiiiiiEEESD_Lb0EEENS_11PassThroughIiEENS_3PadIiiiLb0EEESI_SI_SG_SG_NSC_INS5_IJiiEEESJ_Lb0EEESK_SK_SG_NS_23Merge_v2_magic_divisionINS5_IJiiiiEEEEESN_NS_8RightPadIiiLb0EEESP_NS_7UnMergeISJ_Lb0EEESG_EEENS5_IJNS_8SequenceIJLi0EEEENST_IJLi1EEEENST_IJLi2EEEENST_IJLi3EEEENST_IJLi4EEEENST_IJLi5EEEENST_IJLi6EEEENST_IJLi7EEEENST_IJLi8EEEENST_IJLi9EEEENST_IJLi10EEEENST_IJLi11ELi13ELi15ELi17EEEENST_IJLi12ELi14ELi16ELi18EEEENST_IJLi19EEEENST_IJLi20EEEENST_IJLi22EEEENST_IJLi21EEEEEEENS5_IJNST_IJLi1ELi2ELi3ELi4ELi5EEEES10_S11_S12_S13_S14_NST_IJLi11EEEENST_IJLi12ELi13EEEENST_IJLi14ELi15EEEENST_IJLi16ELi17EEEENST_IJLi18EEEES17_S18_S1A_S19_NST_IJLi23ELi24EEEENST_IJLi25EEEEEEENST_IJLi23ELi25ELi24EEEElEENSB_INS5_IJSR_SP_SP_SR_SG_EEENS5_IJSU_SV_SW_SY_SX_EEENS5_IJNST_IJLi1ELi2EEEESX_SY_NST_IJLi5ELi6EEEES11_EEENST_IJLi5ELi7ELi6EEEElEENSB_INS5_IJSK_SP_SP_EEENS5_IJSU_SV_SW_EEENS5_IJS1P_SX_SY_EEENST_IJLi3ELi4EEEElEELi128ELi128ELi16ELi2ELi4ELi4ELi1ENST_IJLi8ELi2EEEES1Z_NST_IJLi8ELi1ELi1ELi2EEEENST_IJLi2ELi1ELi128ELi1EEEENST_IJLi1ELi2ELi0ELi3EEEES22_NST_IJLi4ELi1ELi1ELi2EEEES22_NST_IJLi1ELi1ELi1ELi2EEEES20_S21_S22_S22_S23_S22_S24_NST_IJLi0ELi1ELi2ELi3ELi4ELi5EEEELi5ELi4EEEDF16_NS5_IJPKDF16_EEEDF16_S8_S8_S9_NSB_INS5_IJSE_SG_SI_SI_SI_SG_SG_SK_SK_SK_SG_SN_SN_SP_SP_SR_SG_SG_NSQ_INS5_IJiNS_17integral_constantIiLi128EEEEEELb0EEENSF_INS2A_IiLi2EEEEEEEENS5_IJSU_SV_SW_SX_SY_SZ_S10_S11_S12_S13_S14_S15_S16_S17_S18_S19_S1A_NST_IJLi23EEEES1J_NST_IJLi24EEEEEEENS5_IJS1C_S10_S11_S12_S13_S14_S1D_S1E_S1F_S1G_S1H_S17_S18_S1A_S19_S1I_S1J_NST_IJLi26EEEENST_IJLi27ELi28EEEENST_IJLi29EEEEEEENST_IJLi26ELi27ELi28ELi29EEEElEENSB_INS5_IJSR_SP_SP_SR_SG_SG_S2D_S2F_EEENS5_IJSU_SV_SW_SY_SX_SZ_S11_S10_EEENS5_IJS1P_SX_SY_S1Q_S11_S12_NST_IJLi9ELi10EEEES1D_EEENST_IJLi8ELi9ELi10ELi11EEEElEENS5_IJNSB_INS5_IJSK_SP_SP_NSQ_INS5_IJiS2E_NS2A_IiLi64EEEEEELb0EEES2Y_EEENS5_IJSU_SV_SW_SX_SY_EEENS5_IJS1P_SX_SY_NST_IJLi5ELi6ELi7EEEENST_IJLi8ELi9ELi10EEEEEEENST_IJLi5ELi6ELi7ELi8ELi9ELi10EEEElEEEEES35_NS_31BlockToCTileMap_M00_N00_M01_N01ILi128ELi128ES1Y_Lb0EEENS1_30ComputePtrOffsetOfStridedBatchILi1ELi1ELi1EvEELb0ELb1EEEvPKT0_S3D_T1_PT2_T3_T4_T5_iT6_T7_T8_T9_T10_T11_,@function
_ZN2ck16tensor_operation6device12_GLOBAL__N_137kernel_grouped_conv_fwd_dl_multiple_dINS_32GridwiseGemmDlMultipleD_km_kn_mnILi256EDF16_fNS_5TupleIJDF16_EEEDF16_NS0_12element_wise11PassThroughES8_NS7_7AddReluELNS_25InMemoryDataOperationEnumE0ENS_16TensorDescriptorINS5_IJNS_5EmbedINS5_IJiiiiiEEESD_Lb0EEENS_11PassThroughIiEENS_3PadIiiiLb0EEESI_SI_SG_SG_NSC_INS5_IJiiEEESJ_Lb0EEESK_SK_SG_NS_23Merge_v2_magic_divisionINS5_IJiiiiEEEEESN_NS_8RightPadIiiLb0EEESP_NS_7UnMergeISJ_Lb0EEESG_EEENS5_IJNS_8SequenceIJLi0EEEENST_IJLi1EEEENST_IJLi2EEEENST_IJLi3EEEENST_IJLi4EEEENST_IJLi5EEEENST_IJLi6EEEENST_IJLi7EEEENST_IJLi8EEEENST_IJLi9EEEENST_IJLi10EEEENST_IJLi11ELi13ELi15ELi17EEEENST_IJLi12ELi14ELi16ELi18EEEENST_IJLi19EEEENST_IJLi20EEEENST_IJLi22EEEENST_IJLi21EEEEEEENS5_IJNST_IJLi1ELi2ELi3ELi4ELi5EEEES10_S11_S12_S13_S14_NST_IJLi11EEEENST_IJLi12ELi13EEEENST_IJLi14ELi15EEEENST_IJLi16ELi17EEEENST_IJLi18EEEES17_S18_S1A_S19_NST_IJLi23ELi24EEEENST_IJLi25EEEEEEENST_IJLi23ELi25ELi24EEEElEENSB_INS5_IJSR_SP_SP_SR_SG_EEENS5_IJSU_SV_SW_SY_SX_EEENS5_IJNST_IJLi1ELi2EEEESX_SY_NST_IJLi5ELi6EEEES11_EEENST_IJLi5ELi7ELi6EEEElEENSB_INS5_IJSK_SP_SP_EEENS5_IJSU_SV_SW_EEENS5_IJS1P_SX_SY_EEENST_IJLi3ELi4EEEElEELi128ELi128ELi16ELi2ELi4ELi4ELi1ENST_IJLi8ELi2EEEES1Z_NST_IJLi8ELi1ELi1ELi2EEEENST_IJLi2ELi1ELi128ELi1EEEENST_IJLi1ELi2ELi0ELi3EEEES22_NST_IJLi4ELi1ELi1ELi2EEEES22_NST_IJLi1ELi1ELi1ELi2EEEES20_S21_S22_S22_S23_S22_S24_NST_IJLi0ELi1ELi2ELi3ELi4ELi5EEEELi5ELi4EEEDF16_NS5_IJPKDF16_EEEDF16_S8_S8_S9_NSB_INS5_IJSE_SG_SI_SI_SI_SG_SG_SK_SK_SK_SG_SN_SN_SP_SP_SR_SG_SG_NSQ_INS5_IJiNS_17integral_constantIiLi128EEEEEELb0EEENSF_INS2A_IiLi2EEEEEEEENS5_IJSU_SV_SW_SX_SY_SZ_S10_S11_S12_S13_S14_S15_S16_S17_S18_S19_S1A_NST_IJLi23EEEES1J_NST_IJLi24EEEEEEENS5_IJS1C_S10_S11_S12_S13_S14_S1D_S1E_S1F_S1G_S1H_S17_S18_S1A_S19_S1I_S1J_NST_IJLi26EEEENST_IJLi27ELi28EEEENST_IJLi29EEEEEEENST_IJLi26ELi27ELi28ELi29EEEElEENSB_INS5_IJSR_SP_SP_SR_SG_SG_S2D_S2F_EEENS5_IJSU_SV_SW_SY_SX_SZ_S11_S10_EEENS5_IJS1P_SX_SY_S1Q_S11_S12_NST_IJLi9ELi10EEEES1D_EEENST_IJLi8ELi9ELi10ELi11EEEElEENS5_IJNSB_INS5_IJSK_SP_SP_NSQ_INS5_IJiS2E_NS2A_IiLi64EEEEEELb0EEES2Y_EEENS5_IJSU_SV_SW_SX_SY_EEENS5_IJS1P_SX_SY_NST_IJLi5ELi6ELi7EEEENST_IJLi8ELi9ELi10EEEEEEENST_IJLi5ELi6ELi7ELi8ELi9ELi10EEEElEEEEES35_NS_31BlockToCTileMap_M00_N00_M01_N01ILi128ELi128ES1Y_Lb0EEENS1_30ComputePtrOffsetOfStridedBatchILi1ELi1ELi1EvEELb0ELb1EEEvPKT0_S3D_T1_PT2_T3_T4_T5_iT6_T7_T8_T9_T10_T11_: ; @_ZN2ck16tensor_operation6device12_GLOBAL__N_137kernel_grouped_conv_fwd_dl_multiple_dINS_32GridwiseGemmDlMultipleD_km_kn_mnILi256EDF16_fNS_5TupleIJDF16_EEEDF16_NS0_12element_wise11PassThroughES8_NS7_7AddReluELNS_25InMemoryDataOperationEnumE0ENS_16TensorDescriptorINS5_IJNS_5EmbedINS5_IJiiiiiEEESD_Lb0EEENS_11PassThroughIiEENS_3PadIiiiLb0EEESI_SI_SG_SG_NSC_INS5_IJiiEEESJ_Lb0EEESK_SK_SG_NS_23Merge_v2_magic_divisionINS5_IJiiiiEEEEESN_NS_8RightPadIiiLb0EEESP_NS_7UnMergeISJ_Lb0EEESG_EEENS5_IJNS_8SequenceIJLi0EEEENST_IJLi1EEEENST_IJLi2EEEENST_IJLi3EEEENST_IJLi4EEEENST_IJLi5EEEENST_IJLi6EEEENST_IJLi7EEEENST_IJLi8EEEENST_IJLi9EEEENST_IJLi10EEEENST_IJLi11ELi13ELi15ELi17EEEENST_IJLi12ELi14ELi16ELi18EEEENST_IJLi19EEEENST_IJLi20EEEENST_IJLi22EEEENST_IJLi21EEEEEEENS5_IJNST_IJLi1ELi2ELi3ELi4ELi5EEEES10_S11_S12_S13_S14_NST_IJLi11EEEENST_IJLi12ELi13EEEENST_IJLi14ELi15EEEENST_IJLi16ELi17EEEENST_IJLi18EEEES17_S18_S1A_S19_NST_IJLi23ELi24EEEENST_IJLi25EEEEEEENST_IJLi23ELi25ELi24EEEElEENSB_INS5_IJSR_SP_SP_SR_SG_EEENS5_IJSU_SV_SW_SY_SX_EEENS5_IJNST_IJLi1ELi2EEEESX_SY_NST_IJLi5ELi6EEEES11_EEENST_IJLi5ELi7ELi6EEEElEENSB_INS5_IJSK_SP_SP_EEENS5_IJSU_SV_SW_EEENS5_IJS1P_SX_SY_EEENST_IJLi3ELi4EEEElEELi128ELi128ELi16ELi2ELi4ELi4ELi1ENST_IJLi8ELi2EEEES1Z_NST_IJLi8ELi1ELi1ELi2EEEENST_IJLi2ELi1ELi128ELi1EEEENST_IJLi1ELi2ELi0ELi3EEEES22_NST_IJLi4ELi1ELi1ELi2EEEES22_NST_IJLi1ELi1ELi1ELi2EEEES20_S21_S22_S22_S23_S22_S24_NST_IJLi0ELi1ELi2ELi3ELi4ELi5EEEELi5ELi4EEEDF16_NS5_IJPKDF16_EEEDF16_S8_S8_S9_NSB_INS5_IJSE_SG_SI_SI_SI_SG_SG_SK_SK_SK_SG_SN_SN_SP_SP_SR_SG_SG_NSQ_INS5_IJiNS_17integral_constantIiLi128EEEEEELb0EEENSF_INS2A_IiLi2EEEEEEEENS5_IJSU_SV_SW_SX_SY_SZ_S10_S11_S12_S13_S14_S15_S16_S17_S18_S19_S1A_NST_IJLi23EEEES1J_NST_IJLi24EEEEEEENS5_IJS1C_S10_S11_S12_S13_S14_S1D_S1E_S1F_S1G_S1H_S17_S18_S1A_S19_S1I_S1J_NST_IJLi26EEEENST_IJLi27ELi28EEEENST_IJLi29EEEEEEENST_IJLi26ELi27ELi28ELi29EEEElEENSB_INS5_IJSR_SP_SP_SR_SG_SG_S2D_S2F_EEENS5_IJSU_SV_SW_SY_SX_SZ_S11_S10_EEENS5_IJS1P_SX_SY_S1Q_S11_S12_NST_IJLi9ELi10EEEES1D_EEENST_IJLi8ELi9ELi10ELi11EEEElEENS5_IJNSB_INS5_IJSK_SP_SP_NSQ_INS5_IJiS2E_NS2A_IiLi64EEEEEELb0EEES2Y_EEENS5_IJSU_SV_SW_SX_SY_EEENS5_IJS1P_SX_SY_NST_IJLi5ELi6ELi7EEEENST_IJLi8ELi9ELi10EEEEEEENST_IJLi5ELi6ELi7ELi8ELi9ELi10EEEElEEEEES35_NS_31BlockToCTileMap_M00_N00_M01_N01ILi128ELi128ES1Y_Lb0EEENS1_30ComputePtrOffsetOfStridedBatchILi1ELi1ELi1EvEELb0ELb1EEEvPKT0_S3D_T1_PT2_T3_T4_T5_iT6_T7_T8_T9_T10_T11_
; %bb.0:
	s_clause 0x6
	s_load_dword s0, s[4:5], 0x24
	s_load_dwordx4 s[40:43], s[4:5], 0x3c
	s_load_dword s7, s[4:5], 0x4c
	s_load_dword s2, s[4:5], 0x300
	s_load_dwordx8 s[24:31], s[4:5], 0x2d8
	s_load_dwordx8 s[16:23], s[4:5], 0x0
	s_load_dwordx4 s[68:71], s[4:5], 0x2c0
	v_lshrrev_b32_e32 v80, 1, v0
	s_mov_b32 s39, 0x31014000
	v_lshrrev_b32_e32 v81, 5, v0
	s_mov_b32 s47, s39
	v_lshlrev_b32_e32 v82, 1, v0
	v_mov_b32_e32 v24, 0
	v_mov_b32_e32 v69, 0
	v_lshlrev_b32_e32 v84, 6, v81
	v_lshlrev_b32_e32 v81, 3, v81
	v_and_b32_e32 v95, 0x1f8, v82
	v_mov_b32_e32 v70, 0
	v_mov_b32_e32 v46, 0
	;; [unrolled: 1-line block ×3, first 2 shown]
	s_waitcnt lgkmcnt(0)
	s_abs_i32 s1, s0
	v_sub_nc_u32_e32 v95, v95, v84
	v_cvt_f32_u32_e32 v1, s1
	s_sub_i32 s8, 0, s1
	s_abs_i32 s9, s2
	s_xor_b32 s0, s2, s0
	v_mov_b32_e32 v63, 0
	v_rcp_iflag_f32_e32 v1, v1
	s_ashr_i32 s0, s0, 31
	v_mov_b32_e32 v64, 0
	v_mov_b32_e32 v40, 0
	v_mov_b32_e32 v41, 0
	v_mov_b32_e32 v56, 0
	v_mov_b32_e32 v58, 0
	v_mov_b32_e32 v37, 0
	v_mov_b32_e32 v38, 0
	v_mov_b32_e32 v52, 0
	v_mul_f32_e32 v1, 0x4f7ffffe, v1
	v_mov_b32_e32 v53, 0
	v_mov_b32_e32 v27, 0
	v_mov_b32_e32 v28, 0
	v_mov_b32_e32 v79, 0
	v_cvt_u32_f32_e32 v1, v1
	v_mov_b32_e32 v76, 0
	v_mov_b32_e32 v44, 0
	;; [unrolled: 1-line block ×4, first 2 shown]
	v_readfirstlane_b32 s3, v1
	v_mov_b32_e32 v73, 0
	v_mov_b32_e32 v42, 0
	;; [unrolled: 1-line block ×4, first 2 shown]
	s_mul_i32 s8, s8, s3
	v_mov_b32_e32 v66, 0
	s_mul_hi_u32 s8, s3, s8
	v_mov_b32_e32 v36, 0
	s_add_i32 s3, s3, s8
	v_mov_b32_e32 v39, 0
	s_mul_hi_u32 s3, s9, s3
	v_mov_b32_e32 v65, 0
	s_mul_i32 s2, s3, s1
	s_add_i32 s8, s3, 1
	s_sub_i32 s2, s9, s2
	v_mov_b32_e32 v60, 0
	s_sub_i32 s9, s2, s1
	s_cmp_ge_u32 s2, s1
	v_mov_b32_e32 v34, 0
	s_cselect_b32 s3, s8, s3
	s_cselect_b32 s2, s9, s2
	s_add_i32 s8, s3, 1
	s_cmp_ge_u32 s2, s1
	v_mov_b32_e32 v35, 0
	s_cselect_b32 s1, s8, s3
	s_abs_i32 s35, s6
	s_xor_b32 s1, s1, s0
	v_mov_b32_e32 v61, 0
	s_sub_i32 s34, s1, s0
	s_clause 0x4
	s_load_dword s72, s[4:5], 0x58
	s_load_dwordx4 s[0:3], s[4:5], 0x54
	s_load_dword s73, s[4:5], 0x64
	s_load_dwordx4 s[48:51], s[4:5], 0x60
	s_load_dwordx8 s[8:15], s[4:5], 0xec
	s_abs_i32 s33, s34
	s_load_dwordx4 s[52:55], s[4:5], 0x10c
	s_waitcnt lgkmcnt(0)
	s_clause 0x2
	s_load_dword s49, s[4:5], 0x120
	s_load_dword s1, s[4:5], 0x12c
	;; [unrolled: 1-line block ×3, first 2 shown]
	v_cvt_f32_u32_e32 v1, s33
	s_sub_i32 s15, 0, s33
	s_clause 0x3
	s_load_dwordx4 s[60:63], s[4:5], 0x298
	s_load_dwordx4 s[64:67], s[4:5], 0x2ac
	s_load_dword s51, s[4:5], 0x70
	s_load_dwordx4 s[56:59], s[4:5], 0x6c
	v_mov_b32_e32 v62, 0
	v_rcp_iflag_f32_e32 v1, v1
	v_mov_b32_e32 v54, 0
	v_mov_b32_e32 v57, 0
	;; [unrolled: 1-line block ×9, first 2 shown]
	v_mul_f32_e32 v1, 0x4f7ffffe, v1
	v_mov_b32_e32 v31, 0
	v_mov_b32_e32 v32, 0
	v_mov_b32_e32 v78, 0
	v_mov_b32_e32 v75, 0
	v_cvt_u32_f32_e32 v1, v1
	v_mov_b32_e32 v74, 0
	v_mov_b32_e32 v72, 0
	;; [unrolled: 1-line block ×4, first 2 shown]
	v_readfirstlane_b32 s11, v1
	v_lshlrev_b32_e32 v1, 3, v0
	v_lshlrev_b32_e32 v0, 2, v0
	v_mov_b32_e32 v67, 0
	v_mov_b32_e32 v68, 0
	s_mul_i32 s15, s15, s11
	v_and_b32_e32 v1, 8, v1
	s_mul_hi_u32 s15, s11, s15
	v_mov_b32_e32 v30, 0
	s_add_i32 s11, s11, s15
	s_xor_b32 s15, s6, s34
	s_mul_hi_u32 s11, s35, s11
	s_ashr_i32 s15, s15, 31
	s_mul_i32 s34, s11, s33
	v_or_b32_e32 v3, 4, v1
	s_sub_i32 s34, s35, s34
	s_add_i32 s35, s11, 1
	s_sub_i32 s36, s34, s33
	s_cmp_ge_u32 s34, s33
	s_waitcnt lgkmcnt(0)
	v_mul_lo_u32 v3, s3, v3
	s_cselect_b32 s11, s35, s11
	s_cselect_b32 s34, s36, s34
	s_add_i32 s35, s11, 1
	s_cmp_ge_u32 s34, s33
	s_mul_hi_u32 s33, s67, s6
	s_cselect_b32 s11, s35, s11
	v_mul_lo_u32 v2, s3, v1
	s_xor_b32 s11, s11, s15
	v_mul_hi_u32 v5, v3, s14
	s_sub_i32 s11, s11, s15
	v_mov_b32_e32 v59, 0
	s_ashr_i32 s15, s11, 31
	s_mul_hi_u32 s35, s24, s11
	s_mul_i32 s34, s24, s11
	s_mul_hi_u32 s44, s28, s11
	s_mul_i32 s24, s24, s15
	s_mul_i32 s45, s26, s15
	;; [unrolled: 1-line block ×4, first 2 shown]
	s_mul_hi_u32 s37, s26, s11
	s_mul_i32 s29, s29, s11
	s_add_i32 s15, s44, s15
	s_mul_hi_u32 s38, s30, s11
	s_mul_i32 s25, s25, s11
	s_mul_i32 s36, s28, s11
	s_add_i32 s24, s35, s24
	s_add_i32 s28, s37, s45
	;; [unrolled: 1-line block ×3, first 2 shown]
	s_mul_i32 s27, s27, s11
	s_mul_i32 s31, s31, s11
	s_add_i32 s38, s38, s46
	s_add_i32 s35, s24, s25
	s_lshl_b64 s[24:25], s[36:37], 1
	s_add_i32 s27, s28, s27
	s_add_i32 s31, s38, s31
	s_add_u32 s28, s20, s24
	s_addc_u32 s25, s21, s25
	s_lshl_b64 s[20:21], s[34:35], 1
	s_mul_i32 s26, s26, s11
	s_add_u32 s36, s16, s20
	s_addc_u32 s37, s17, s21
	s_lshl_b64 s[16:17], s[26:27], 1
	s_mul_i32 s30, s30, s11
	s_add_u32 s44, s18, s16
	s_addc_u32 s11, s19, s17
	s_lshl_b64 s[16:17], s[30:31], 1
	s_clause 0x2
	s_load_dword s26, s[4:5], 0x27c
	s_load_dword s45, s[4:5], 0x28c
	;; [unrolled: 1-line block ×3, first 2 shown]
	s_add_u32 s24, s22, s16
	s_addc_u32 s15, s23, s17
	s_add_i32 s16, s6, s33
	v_mul_hi_u32 v4, v2, s14
	s_lshr_b32 s33, s16, s71
	v_add_nc_u32_e32 v5, v3, v5
	s_mul_hi_u32 s16, s33, s66
	s_and_b32 s37, s37, 0xffff
	s_add_i32 s16, s33, s16
	s_lshr_b32 s38, s16, s70
	s_load_dwordx8 s[16:23], s[4:5], 0xb8
	s_waitcnt lgkmcnt(0)
	s_mul_hi_u32 s19, s38, s65
	s_mul_i32 s23, s38, s62
	s_add_i32 s19, s38, s19
	s_sub_i32 s23, s33, s23
	s_lshr_b32 s46, s19, s69
	v_add_nc_u32_e32 v4, v2, v4
	s_mul_hi_u32 s19, s46, s64
	v_lshrrev_b32_e32 v5, s54, v5
	s_add_i32 s19, s46, s19
	s_mul_i32 s33, s33, s63
	s_lshr_b32 s19, s19, s68
	v_lshrrev_b32_e32 v6, s54, v4
	s_mul_i32 s19, s19, s60
	v_mul_hi_u32 v8, v5, s13
	s_sub_i32 s19, s46, s19
	v_mul_lo_u32 v11, v5, s10
	s_mul_i32 s19, s19, s26
	s_clause 0x3
	s_load_dwordx2 s[30:31], s[4:5], 0x88
	s_load_dwordx2 s[26:27], s[4:5], 0x98
	;; [unrolled: 1-line block ×3, first 2 shown]
	s_load_dwordx4 s[64:67], s[4:5], 0xd8
	s_add_i32 s23, s23, s19
	v_mul_hi_u32 v7, v6, s13
	s_lshl_b32 s29, s23, 7
	v_add_nc_u32_e32 v8, v5, v8
	v_or_b32_e32 v4, s29, v80
	v_sub_nc_u32_e32 v98, v3, v11
	v_mul_lo_u32 v10, v6, s10
	s_mul_i32 s46, s46, s61
	v_lshrrev_b32_e32 v8, s53, v8
	v_mul_hi_u32 v9, v4, s22
	v_add_nc_u32_e32 v7, v6, v7
	s_clause 0x3
	s_load_dword s60, s[4:5], 0x160
	s_load_dword s62, s[4:5], 0x170
	;; [unrolled: 1-line block ×4, first 2 shown]
	s_waitcnt lgkmcnt(0)
	s_clause 0x2
	s_load_dword s67, s[4:5], 0x1c0
	s_load_dwordx2 s[22:23], s[4:5], 0x1d0
	s_load_dword s19, s[4:5], 0x1dc
	s_sub_i32 s6, s6, s33
	v_mul_hi_u32 v14, v8, s12
	v_mul_lo_u32 v16, v8, s9
	v_lshrrev_b32_e32 v7, s53, v7
	v_mul_lo_u32 v13, s59, v1
	v_add_nc_u32_e32 v9, v4, v9
	v_sub_nc_u32_e32 v10, v2, v10
	v_mul_lo_u32 v11, v7, s9
	v_mul_hi_u32 v12, v7, s12
	v_lshrrev_b32_e32 v9, s66, v9
	v_add_nc_u32_e32 v14, v8, v14
	v_sub_nc_u32_e32 v96, v5, v16
	v_mul_lo_u32 v17, v10, s7
	v_sub_nc_u32_e32 v10, v98, v10
	v_mul_hi_u32 v15, v9, s21
	v_sub_nc_u32_e32 v6, v6, v11
	v_add_nc_u32_e32 v12, v7, v12
	v_lshrrev_b32_e32 v99, s52, v14
	v_mul_lo_u32 v10, v10, s7
	v_mul_lo_u32 v5, v6, s34
	v_lshrrev_b32_e32 v12, s52, v12
	v_add_nc_u32_e32 v11, v9, v15
	v_mul_lo_u32 v15, v99, s8
	v_sub_nc_u32_e32 v16, v96, v6
	v_mul_lo_u32 v14, v12, s8
	v_lshrrev_b32_e32 v11, s65, v11
	v_sub_nc_u32_e32 v18, v99, v12
	v_mul_lo_u32 v6, v12, s30
	v_mul_lo_u32 v12, v9, s18
	v_sub_nc_u32_e32 v102, v8, v15
	v_mul_hi_u32 v19, v11, s20
	v_mul_lo_u32 v15, v11, s17
	v_sub_nc_u32_e32 v14, v7, v14
	s_sub_i32 s18, s38, s46
	v_mul_lo_u32 v101, v18, s30
	s_mul_i32 s18, s18, s45
	v_sub_nc_u32_e32 v12, v4, v12
	s_add_i32 s6, s6, s18
	v_add_nc_u32_e32 v8, v11, v19
	v_mul_lo_u32 v7, v14, s26
	v_sub_nc_u32_e32 v9, v9, v15
	s_lshl_b32 s33, s6, 7
	v_mul_lo_u32 v100, v16, s34
	v_lshrrev_b32_e32 v18, s64, v8
	v_sub_nc_u32_e32 v8, v102, v14
	v_mad_u64_u32 v[14:15], null, v12, s35, v[5:6]
	v_or_b32_e32 v103, s33, v80
	v_mul_lo_u32 v19, v18, s16
	v_mad_u64_u32 v[15:16], null, v9, s27, v[7:8]
	v_mul_lo_u32 v104, v8, s26
	v_mul_lo_u32 v9, v100, s43
	v_mad_u64_u32 v[7:8], null, v103, s62, v[13:14]
	v_mul_lo_u32 v18, v18, s40
	v_sub_nc_u32_e32 v5, v11, v19
	v_mul_lo_u32 v11, v101, s41
	s_waitcnt lgkmcnt(0)
	s_lshl_b32 s46, s67, 1
	v_mul_lo_u32 v16, v104, s42
	s_and_b32 s45, s11, 0xffff
	v_mad_u64_u32 v[93:94], null, v5, s31, v[6:7]
	v_subrev_nc_u32_e32 v5, s51, v14
	v_subrev_nc_u32_e32 v6, s73, v15
	s_lshl_b32 s31, s59, 2
	v_lshlrev_b32_e32 v12, 1, v7
	v_add_nc_u32_e32 v105, s31, v7
	v_mul_lo_u32 v5, v5, s43
	v_mul_lo_u32 v6, v6, s42
	v_subrev_nc_u32_e32 v8, s72, v93
	v_add3_u32 v20, v9, v10, v11
	s_lshl_b32 s38, s60, 1
	v_lshlrev_b32_e32 v80, 2, v80
	s_mul_i32 s59, s59, 12
	v_mul_lo_u32 v19, v8, s41
	v_add3_u32 v17, v5, v17, v6
	buffer_load_dwordx4 v[5:8], v12, s[44:47], 0 offen
	v_lshlrev_b32_e32 v12, 1, v105
	v_lshl_or_b32 v84, v1, 9, v80
	v_add3_u32 v17, v17, v18, v19
	buffer_load_dwordx4 v[9:12], v12, s[44:47], 0 offen
	v_or_b32_e32 v18, 16, v1
	v_add3_u32 v106, v20, v16, v17
	v_lshlrev_b32_e32 v16, 1, v17
	v_mul_lo_u32 v107, s3, v18
	v_or_b32_e32 v18, 20, v1
	v_mov_b32_e32 v20, 0
	v_lshlrev_b32_e32 v17, 1, v106
	s_clause 0x1
	buffer_load_dwordx4 v[85:88], v16, s[36:39], 0 offen
	buffer_load_dwordx4 v[89:92], v17, s[36:39], 0 offen
	v_mul_hi_u32 v19, v107, s14
	v_mul_lo_u32 v108, s3, v18
	v_cmp_gt_i32_e64 s3, s1, v2
	s_clause 0x5
	s_load_dword s21, s[4:5], 0x1e8
	s_load_dword s27, s[4:5], 0x210
	s_load_dwordx2 s[16:17], s[4:5], 0x220
	s_load_dword s11, s[4:5], 0x22c
	s_load_dword s18, s[4:5], 0x238
	;; [unrolled: 1-line block ×3, first 2 shown]
	v_cmp_gt_i32_e64 s4, s1, v3
	v_cmp_gt_i32_e64 s6, s1, v107
	;; [unrolled: 1-line block ×3, first 2 shown]
	v_mov_b32_e32 v16, 0
	v_add_nc_u32_e32 v19, v107, v19
	v_mul_hi_u32 v29, v108, s14
	s_sub_i32 s14, s0, s2
	v_cmp_gt_i32_e64 s0, s55, v103
	v_cmp_gt_i32_e64 s2, s49, v4
	v_lshrrev_b32_e32 v94, s54, v19
	v_mov_b32_e32 v17, 0
	v_mov_b32_e32 v18, 0
	s_and_b32 s5, s5, s0
	v_add_nc_u32_e32 v55, v108, v29
	v_mul_hi_u32 v33, v94, s13
	v_mov_b32_e32 v19, 0
	v_mov_b32_e32 v29, 0
	v_lshrrev_b32_e32 v109, s54, v55
	v_mov_b32_e32 v55, 0
	v_add_nc_u32_e32 v33, v94, v33
	v_mul_hi_u32 v83, v109, s13
	s_sub_i32 s13, s48, s50
	v_lshrrev_b32_e32 v97, s53, v33
	v_mov_b32_e32 v33, 0
	v_add_nc_u32_e32 v111, v109, v83
	v_mul_hi_u32 v110, v97, s12
	v_and_or_b32 v83, v82, 4, v81
	v_and_or_b32 v82, v0, 4, v95
	v_mul_lo_u32 v0, v94, s10
	v_lshrrev_b32_e32 v111, s53, v111
	v_mul_lo_u32 v95, v97, s9
	v_lshlrev_b32_e32 v80, 2, v83
	v_or_b32_e32 v83, s29, v83
	v_add_nc_u32_e32 v81, v97, v110
	v_mul_hi_u32 v1, v111, s12
	s_sub_i32 s12, s56, s58
	v_sub_nc_u32_e32 v0, v107, v0
	s_and_b32 s29, s25, 0xffff
	v_lshrrev_b32_e32 v110, s52, v81
	v_lshlrev_b32_e32 v81, 2, v82
	v_add_nc_u32_e32 v82, s33, v82
	s_and_b32 s25, s15, 0xffff
	v_add_nc_u32_e32 v113, v111, v1
	v_mul_lo_u32 v112, v110, s8
	v_sub_nc_u32_e32 v1, v94, v95
	v_lshrrev_b32_e32 v113, s52, v113
	v_mad_u64_u32 v[94:95], null, v109, s10, v[0:1]
	v_sub_nc_u32_e32 v2, v97, v112
	v_sub_nc_u32_e32 v112, v1, v96
	v_cmp_le_i32_e64 s10, s51, v14
	v_mad_u64_u32 v[95:96], null, v111, s9, v[1:2]
	v_mad_u64_u32 v[96:97], null, v113, s8, v[2:3]
	v_sub_nc_u32_e32 v1, v0, v98
	v_sub_nc_u32_e32 v0, v110, v99
	v_sub_nc_u32_e32 v94, v108, v94
	v_sub_nc_u32_e32 v97, v113, v110
	v_sub_nc_u32_e32 v95, v109, v95
	v_sub_nc_u32_e32 v2, v2, v102
	v_sub_nc_u32_e32 v96, v111, v96
	v_mul_lo_u32 v99, v0, s30
	v_mul_lo_u32 v0, v94, s7
	;; [unrolled: 1-line block ×5, first 2 shown]
	v_add_nc_u32_e32 v111, s31, v13
	v_mul_lo_u32 v95, v1, s7
	v_mul_lo_u32 v98, v112, s34
	v_cmp_gt_i32_e64 s7, s1, v108
	v_cmp_gt_i32_e64 s9, s12, v14
	v_mad_u64_u32 v[0:1], null, v94, s43, v[0:1]
	v_mul_lo_u32 v110, v97, s41
	v_mul_lo_u32 v1, v2, s26
	;; [unrolled: 1-line block ×3, first 2 shown]
	v_add_nc_u32_e32 v3, s59, v111
	s_and_b32 s26, s9, s3
	v_mul_lo_u32 v109, v98, s43
	s_and_b32 s26, s26, s10
	v_mul_lo_u32 v102, v99, s41
	v_cmp_gt_i32_e64 s1, s57, v3
	v_cmp_gt_i32_e64 s8, s57, v111
	v_add3_u32 v0, v0, v110, v2
	v_add_nc_u32_e32 v2, s31, v3
	v_add_nc_u32_e32 v3, v14, v100
	s_and_b32 s1, s1, s0
	v_add3_u32 v13, v109, v95, v102
	v_mul_lo_u32 v95, v1, s42
	v_add_nc_u32_e32 v14, v3, v98
	v_cmp_gt_i32_e64 s3, s12, v3
	v_cmp_le_i32_e64 s9, s51, v3
	v_cmp_gt_i32_e32 vcc_lo, s57, v2
	v_add_nc_u32_e32 v2, s59, v105
	v_cmp_gt_i32_e64 s10, s12, v14
	v_add_nc_u32_e32 v3, v14, v94
	s_and_b32 s4, s3, s4
	v_cmp_le_i32_e64 s3, s51, v14
	s_and_b32 s30, s4, s9
	s_and_b32 s9, s10, s6
	v_cmp_le_i32_e64 s4, s51, v3
	v_cmp_gt_i32_e64 s6, s12, v3
	v_add_nc_u32_e32 v3, v15, v104
	s_and_b32 s10, s9, s3
	v_cmp_le_i32_e64 s3, s73, v15
	v_cmp_gt_i32_e64 s9, s13, v15
	s_and_b32 s6, s6, s7
	v_add_nc_u32_e32 v1, v3, v1
	s_and_b32 s12, s6, s4
	v_cmp_le_i32_e64 s4, s73, v3
	v_cmp_gt_i32_e64 s6, s13, v3
	s_and_b32 s9, s3, s9
	v_cmp_le_i32_e64 s3, s73, v1
	v_cmp_gt_i32_e64 s7, s13, v1
	v_add_nc_u32_e32 v1, v1, v96
	v_add_nc_u32_e32 v3, v93, v101
	s_and_b32 s4, s4, s6
	s_and_b32 s26, s26, s9
	;; [unrolled: 1-line block ×3, first 2 shown]
	v_cmp_le_i32_e64 s6, s72, v93
	v_cmp_gt_i32_e64 s7, s14, v93
	s_and_b32 s30, s30, s4
	v_cmp_gt_i32_e64 s4, s13, v1
	s_and_b32 s13, s10, s9
	v_cmp_le_i32_e64 s9, s72, v3
	v_cmp_gt_i32_e64 s10, s14, v3
	v_cmp_le_i32_e64 s3, s73, v1
	v_add_nc_u32_e32 v1, v3, v99
	s_and_b32 s6, s6, s7
	v_lshlrev_b32_e32 v4, 1, v2
	s_and_b32 s6, s26, s6
	s_and_b32 s9, s9, s10
	s_and_b32 s7, s3, s4
	v_cmp_le_i32_e64 s3, s72, v1
	v_cmp_gt_i32_e64 s4, s14, v1
	v_add_nc_u32_e32 v1, v1, v97
	s_and_b32 s9, s30, s9
	v_add_lshl_u32 v2, v2, s31, 1
	s_and_b32 s7, s12, s7
	s_and_b32 s3, s3, s4
	s_and_b32 vcc_lo, vcc_lo, s0
	s_and_b32 s3, s13, s3
	s_waitcnt lgkmcnt(0)
	s_lshl_b32 s30, s27, 1
	s_and_b32 s3, s2, s3
	s_mov_b32 s31, s39
	s_lshl_b32 s26, s20, 1
	s_mov_b32 s27, s39
	s_waitcnt vmcnt(3)
	v_cndmask_b32_e64 v3, 0, v8, s5
	v_cndmask_b32_e64 v7, 0, v7, s5
	;; [unrolled: 1-line block ×4, first 2 shown]
	s_and_b32 s5, s8, s0
	s_lshl_b32 s0, s23, 6
	s_waitcnt vmcnt(2)
	v_cndmask_b32_e64 v8, 0, v12, s5
	v_cndmask_b32_e64 v10, 0, v10, s5
	;; [unrolled: 1-line block ×3, first 2 shown]
	v_add3_u32 v12, v13, v95, v106
	v_cndmask_b32_e64 v11, 0, v11, s5
	s_and_b32 s5, s2, s6
	ds_write2st64_b32 v84, v5, v6 offset0:64 offset1:66
	ds_write2st64_b32 v84, v7, v3 offset0:68 offset1:70
	;; [unrolled: 1-line block ×3, first 2 shown]
	v_cmp_gt_i32_e64 s6, s14, v1
	v_add_lshl_u32 v0, v0, v12, 1
	s_waitcnt vmcnt(1)
	v_cndmask_b32_e64 v3, 0, v88, s5
	v_cndmask_b32_e64 v5, 0, v87, s5
	;; [unrolled: 1-line block ×4, first 2 shown]
	s_and_b32 s5, s2, s9
	s_waitcnt vmcnt(0)
	v_cndmask_b32_e64 v9, 0, v92, s5
	v_cndmask_b32_e64 v10, 0, v90, s5
	;; [unrolled: 1-line block ×4, first 2 shown]
	v_cmp_le_i32_e64 s5, s72, v1
	v_lshlrev_b32_e32 v1, 1, v12
	ds_write2st64_b32 v84, v11, v8 offset0:76 offset1:78
	ds_write2st64_b32 v84, v7, v6 offset1:2
	ds_write2st64_b32 v84, v5, v3 offset0:4 offset1:6
	ds_write2st64_b32 v84, v13, v10 offset0:8 offset1:10
	ds_write2st64_b32 v84, v14, v9 offset0:12 offset1:14
	s_waitcnt lgkmcnt(0)
	s_barrier
	ds_read_b128 v[85:88], v80
	ds_read_b128 v[89:92], v81 offset:16384
	s_clause 0x1
	buffer_load_dwordx4 v[12:15], v1, s[36:39], 0 offen
	buffer_load_dwordx4 v[8:11], v0, s[36:39], 0 offen
	s_clause 0x1
	buffer_load_dwordx4 v[4:7], v4, s[44:47], 0 offen
	buffer_load_dwordx4 v[0:3], v2, s[44:47], 0 offen
	ds_read_b128 v[93:96], v81 offset:16640
	ds_read_b128 v[97:100], v80 offset:256
	;; [unrolled: 1-line block ×6, first 2 shown]
	s_and_b32 s4, s5, s6
	s_and_b32 s4, s7, s4
	;; [unrolled: 1-line block ×3, first 2 shown]
	s_waitcnt lgkmcnt(4)
	v_dot2c_f32_f16 v78, v97, v93
	v_dot2c_f32_f16 v79, v85, v93
	;; [unrolled: 1-line block ×33, first 2 shown]
	ds_read_b128 v[85:88], v81 offset:17408
	ds_read_b128 v[117:120], v81 offset:17664
	v_dot2c_f32_f16 v61, v97, v89
	v_dot2c_f32_f16 v62, v97, v90
	v_dot2c_f32_f16 v16, v97, v91
	v_dot2c_f32_f16 v17, v97, v92
	v_dot2c_f32_f16 v54, v98, v89
	v_dot2c_f32_f16 v57, v98, v90
	v_dot2c_f32_f16 v20, v98, v91
	v_dot2c_f32_f16 v21, v98, v92
	v_dot2c_f32_f16 v50, v99, v89
	v_dot2c_f32_f16 v51, v99, v90
	v_dot2c_f32_f16 v25, v99, v91
	v_dot2c_f32_f16 v26, v99, v92
	v_dot2c_f32_f16 v48, v100, v89
	v_dot2c_f32_f16 v49, v100, v90
	v_dot2c_f32_f16 v31, v100, v91
	v_dot2c_f32_f16 v32, v100, v92
	v_dot2c_f32_f16 v75, v97, v94
	v_dot2c_f32_f16 v18, v97, v95
	v_dot2c_f32_f16 v19, v97, v96
	v_dot2c_f32_f16 v74, v98, v93
	v_dot2c_f32_f16 v72, v98, v94
	v_dot2c_f32_f16 v22, v98, v95
	v_dot2c_f32_f16 v23, v98, v96
	v_dot2c_f32_f16 v67, v99, v93
	v_dot2c_f32_f16 v68, v99, v94
	v_dot2c_f32_f16 v29, v99, v95
	v_dot2c_f32_f16 v30, v99, v96
	v_dot2c_f32_f16 v59, v100, v93
	v_dot2c_f32_f16 v55, v100, v94
	v_dot2c_f32_f16 v33, v100, v95
	v_dot2c_f32_f16 v24, v100, v96
	ds_read_b128 v[89:92], v80 offset:1024
	ds_read_b128 v[93:96], v80 offset:1280
	s_waitcnt lgkmcnt(5)
	v_dot2c_f32_f16 v69, v109, v101
	v_dot2c_f32_f16 v70, v109, v102
	v_dot2c_f32_f16 v46, v109, v103
	v_dot2c_f32_f16 v47, v109, v104
	v_dot2c_f32_f16 v63, v110, v101
	v_dot2c_f32_f16 v64, v110, v102
	v_dot2c_f32_f16 v40, v110, v103
	v_dot2c_f32_f16 v41, v110, v104
	v_dot2c_f32_f16 v56, v111, v101
	v_dot2c_f32_f16 v58, v111, v102
	v_dot2c_f32_f16 v37, v111, v103
	v_dot2c_f32_f16 v38, v111, v104
	v_dot2c_f32_f16 v52, v112, v101
	v_dot2c_f32_f16 v53, v112, v102
	v_dot2c_f32_f16 v27, v112, v103
	v_dot2c_f32_f16 v28, v112, v104
	v_dot2c_f32_f16 v79, v109, v105
	v_dot2c_f32_f16 v76, v109, v106
	v_dot2c_f32_f16 v44, v109, v107
	v_dot2c_f32_f16 v45, v109, v108
	v_dot2c_f32_f16 v77, v110, v105
	v_dot2c_f32_f16 v73, v110, v106
	v_dot2c_f32_f16 v42, v110, v107
	v_dot2c_f32_f16 v43, v110, v108
	v_dot2c_f32_f16 v71, v111, v105
	v_dot2c_f32_f16 v66, v111, v106
	v_dot2c_f32_f16 v36, v111, v107
	v_dot2c_f32_f16 v39, v111, v108
	v_dot2c_f32_f16 v65, v112, v105
	v_dot2c_f32_f16 v60, v112, v106
	v_dot2c_f32_f16 v34, v112, v107
	v_dot2c_f32_f16 v35, v112, v108
	ds_read_b128 v[97:100], v81 offset:17920
	ds_read_b128 v[109:112], v81 offset:18176
	s_waitcnt lgkmcnt(6)
	v_dot2c_f32_f16 v61, v113, v101
	v_dot2c_f32_f16 v62, v113, v102
	v_dot2c_f32_f16 v16, v113, v103
	v_dot2c_f32_f16 v17, v113, v104
	v_dot2c_f32_f16 v54, v114, v101
	v_dot2c_f32_f16 v57, v114, v102
	v_dot2c_f32_f16 v20, v114, v103
	v_dot2c_f32_f16 v21, v114, v104
	v_dot2c_f32_f16 v50, v115, v101
	v_dot2c_f32_f16 v51, v115, v102
	v_dot2c_f32_f16 v25, v115, v103
	v_dot2c_f32_f16 v26, v115, v104
	v_dot2c_f32_f16 v48, v116, v101
	v_dot2c_f32_f16 v49, v116, v102
	v_dot2c_f32_f16 v31, v116, v103
	v_dot2c_f32_f16 v32, v116, v104
	v_dot2c_f32_f16 v78, v113, v105
	v_dot2c_f32_f16 v75, v113, v106
	v_dot2c_f32_f16 v18, v113, v107
	v_dot2c_f32_f16 v19, v113, v108
	v_dot2c_f32_f16 v74, v114, v105
	v_dot2c_f32_f16 v72, v114, v106
	v_dot2c_f32_f16 v22, v114, v107
	v_dot2c_f32_f16 v23, v114, v108
	v_dot2c_f32_f16 v67, v115, v105
	v_dot2c_f32_f16 v68, v115, v106
	v_dot2c_f32_f16 v29, v115, v107
	v_dot2c_f32_f16 v30, v115, v108
	v_dot2c_f32_f16 v59, v116, v105
	v_dot2c_f32_f16 v55, v116, v106
	v_dot2c_f32_f16 v33, v116, v107
	v_dot2c_f32_f16 v24, v116, v108
	ds_read_b128 v[101:104], v80 offset:1536
	ds_read_b128 v[105:108], v80 offset:1792
	s_waitcnt lgkmcnt(5)
	v_dot2c_f32_f16 v69, v89, v85
	v_dot2c_f32_f16 v70, v89, v86
	v_dot2c_f32_f16 v46, v89, v87
	v_dot2c_f32_f16 v47, v89, v88
	v_dot2c_f32_f16 v63, v90, v85
	v_dot2c_f32_f16 v64, v90, v86
	v_dot2c_f32_f16 v40, v90, v87
	v_dot2c_f32_f16 v41, v90, v88
	v_dot2c_f32_f16 v56, v91, v85
	v_dot2c_f32_f16 v58, v91, v86
	v_dot2c_f32_f16 v37, v91, v87
	v_dot2c_f32_f16 v38, v91, v88
	v_dot2c_f32_f16 v52, v92, v85
	v_dot2c_f32_f16 v53, v92, v86
	v_dot2c_f32_f16 v27, v92, v87
	v_dot2c_f32_f16 v28, v92, v88
	v_dot2c_f32_f16 v79, v89, v117
	v_dot2c_f32_f16 v76, v89, v118
	v_dot2c_f32_f16 v44, v89, v119
	v_dot2c_f32_f16 v45, v89, v120
	v_dot2c_f32_f16 v77, v90, v117
	v_dot2c_f32_f16 v73, v90, v118
	v_dot2c_f32_f16 v42, v90, v119
	v_dot2c_f32_f16 v43, v90, v120
	v_dot2c_f32_f16 v71, v91, v117
	v_dot2c_f32_f16 v66, v91, v118
	v_dot2c_f32_f16 v36, v91, v119
	v_dot2c_f32_f16 v39, v91, v120
	v_dot2c_f32_f16 v65, v92, v117
	v_dot2c_f32_f16 v60, v92, v118
	v_dot2c_f32_f16 v34, v92, v119
	v_dot2c_f32_f16 v35, v92, v120
	ds_read_b128 v[89:92], v81 offset:18432
	ds_read_b128 v[113:116], v81 offset:18688
	s_waitcnt lgkmcnt(6)
	v_dot2c_f32_f16 v61, v93, v85
	v_dot2c_f32_f16 v62, v93, v86
	v_dot2c_f32_f16 v16, v93, v87
	v_dot2c_f32_f16 v17, v93, v88
	v_dot2c_f32_f16 v54, v94, v85
	v_dot2c_f32_f16 v57, v94, v86
	v_dot2c_f32_f16 v20, v94, v87
	v_dot2c_f32_f16 v21, v94, v88
	v_dot2c_f32_f16 v50, v95, v85
	v_dot2c_f32_f16 v51, v95, v86
	v_dot2c_f32_f16 v25, v95, v87
	v_dot2c_f32_f16 v26, v95, v88
	v_dot2c_f32_f16 v48, v96, v85
	v_dot2c_f32_f16 v49, v96, v86
	v_dot2c_f32_f16 v31, v96, v87
	v_dot2c_f32_f16 v32, v96, v88
	v_dot2c_f32_f16 v78, v93, v117
	v_dot2c_f32_f16 v75, v93, v118
	v_dot2c_f32_f16 v18, v93, v119
	v_dot2c_f32_f16 v19, v93, v120
	v_dot2c_f32_f16 v74, v94, v117
	v_dot2c_f32_f16 v72, v94, v118
	v_dot2c_f32_f16 v22, v94, v119
	v_dot2c_f32_f16 v23, v94, v120
	v_dot2c_f32_f16 v67, v95, v117
	v_dot2c_f32_f16 v68, v95, v118
	v_dot2c_f32_f16 v29, v95, v119
	v_dot2c_f32_f16 v30, v95, v120
	v_dot2c_f32_f16 v59, v96, v117
	v_dot2c_f32_f16 v55, v96, v118
	v_dot2c_f32_f16 v33, v96, v119
	v_dot2c_f32_f16 v24, v96, v120
	ds_read_b128 v[85:88], v80 offset:2048
	ds_read_b128 v[93:96], v80 offset:2304
	s_waitcnt lgkmcnt(5)
	v_dot2c_f32_f16 v69, v101, v97
	v_dot2c_f32_f16 v70, v101, v98
	v_dot2c_f32_f16 v46, v101, v99
	v_dot2c_f32_f16 v47, v101, v100
	v_dot2c_f32_f16 v63, v102, v97
	v_dot2c_f32_f16 v64, v102, v98
	v_dot2c_f32_f16 v40, v102, v99
	v_dot2c_f32_f16 v41, v102, v100
	v_dot2c_f32_f16 v56, v103, v97
	v_dot2c_f32_f16 v58, v103, v98
	v_dot2c_f32_f16 v37, v103, v99
	v_dot2c_f32_f16 v38, v103, v100
	v_dot2c_f32_f16 v52, v104, v97
	v_dot2c_f32_f16 v53, v104, v98
	v_dot2c_f32_f16 v27, v104, v99
	v_dot2c_f32_f16 v28, v104, v100
	v_dot2c_f32_f16 v79, v101, v109
	v_dot2c_f32_f16 v76, v101, v110
	v_dot2c_f32_f16 v44, v101, v111
	v_dot2c_f32_f16 v45, v101, v112
	v_dot2c_f32_f16 v77, v102, v109
	v_dot2c_f32_f16 v73, v102, v110
	v_dot2c_f32_f16 v42, v102, v111
	v_dot2c_f32_f16 v43, v102, v112
	v_dot2c_f32_f16 v71, v103, v109
	v_dot2c_f32_f16 v66, v103, v110
	v_dot2c_f32_f16 v36, v103, v111
	v_dot2c_f32_f16 v39, v103, v112
	v_dot2c_f32_f16 v65, v104, v109
	v_dot2c_f32_f16 v60, v104, v110
	v_dot2c_f32_f16 v34, v104, v111
	v_dot2c_f32_f16 v35, v104, v112
	ds_read_b128 v[101:104], v81 offset:18944
	ds_read_b128 v[117:120], v81 offset:19200
	s_waitcnt lgkmcnt(6)
	v_dot2c_f32_f16 v61, v105, v97
	v_dot2c_f32_f16 v62, v105, v98
	v_dot2c_f32_f16 v16, v105, v99
	;; [unrolled: 1-line block ×31, first 2 shown]
	ds_read_b128 v[97:100], v80 offset:2560
	ds_read_b128 v[105:108], v80 offset:2816
	;; [unrolled: 1-line block ×3, first 2 shown]
	s_waitcnt lgkmcnt(6)
	v_dot2c_f32_f16 v69, v85, v89
	v_dot2c_f32_f16 v70, v85, v90
	;; [unrolled: 1-line block ×32, first 2 shown]
	s_waitcnt lgkmcnt(5)
	v_dot2c_f32_f16 v61, v93, v89
	v_dot2c_f32_f16 v62, v93, v90
	;; [unrolled: 1-line block ×16, first 2 shown]
	ds_read_b128 v[85:88], v81 offset:19456
	ds_read_b128 v[89:92], v81 offset:19712
	v_dot2c_f32_f16 v78, v93, v113
	v_dot2c_f32_f16 v75, v93, v114
	;; [unrolled: 1-line block ×16, first 2 shown]
	ds_read_b128 v[93:96], v80 offset:3328
	s_waitcnt lgkmcnt(5)
	v_dot2c_f32_f16 v69, v97, v101
	v_dot2c_f32_f16 v70, v97, v102
	;; [unrolled: 1-line block ×32, first 2 shown]
	s_waitcnt lgkmcnt(4)
	v_dot2c_f32_f16 v61, v105, v101
	v_dot2c_f32_f16 v62, v105, v102
	;; [unrolled: 1-line block ×32, first 2 shown]
	s_waitcnt lgkmcnt(2)
	v_dot2c_f32_f16 v69, v109, v85
	v_dot2c_f32_f16 v70, v109, v86
	;; [unrolled: 1-line block ×16, first 2 shown]
	s_waitcnt lgkmcnt(1)
	v_dot2c_f32_f16 v79, v109, v89
	v_dot2c_f32_f16 v76, v109, v90
	;; [unrolled: 1-line block ×16, first 2 shown]
	ds_read_b128 v[97:100], v80 offset:3584
	s_waitcnt lgkmcnt(1)
	v_dot2c_f32_f16 v61, v93, v85
	v_dot2c_f32_f16 v62, v93, v86
	;; [unrolled: 1-line block ×15, first 2 shown]
	ds_read_b128 v[101:104], v81 offset:19968
	v_dot2c_f32_f16 v32, v96, v88
	v_dot2c_f32_f16 v78, v93, v89
	;; [unrolled: 1-line block ×15, first 2 shown]
	ds_read_b128 v[85:88], v81 offset:20224
	v_dot2c_f32_f16 v33, v96, v91
	v_dot2c_f32_f16 v24, v96, v92
	ds_read_b128 v[89:92], v80 offset:3840
	ds_read_b128 v[93:96], v80 offset:4096
	s_waitcnt lgkmcnt(3)
	v_dot2c_f32_f16 v69, v97, v101
	v_dot2c_f32_f16 v70, v97, v102
	;; [unrolled: 1-line block ×16, first 2 shown]
	s_waitcnt lgkmcnt(2)
	v_dot2c_f32_f16 v79, v97, v85
	v_dot2c_f32_f16 v76, v97, v86
	v_dot2c_f32_f16 v44, v97, v87
	v_dot2c_f32_f16 v45, v97, v88
	v_dot2c_f32_f16 v77, v98, v85
	v_dot2c_f32_f16 v73, v98, v86
	v_dot2c_f32_f16 v42, v98, v87
	v_dot2c_f32_f16 v43, v98, v88
	v_dot2c_f32_f16 v71, v99, v85
	v_dot2c_f32_f16 v66, v99, v86
	v_dot2c_f32_f16 v36, v99, v87
	v_dot2c_f32_f16 v39, v99, v88
	v_dot2c_f32_f16 v65, v100, v85
	v_dot2c_f32_f16 v60, v100, v86
	v_dot2c_f32_f16 v34, v100, v87
	v_dot2c_f32_f16 v35, v100, v88
	s_waitcnt lgkmcnt(1)
	v_dot2c_f32_f16 v61, v89, v101
	v_dot2c_f32_f16 v62, v89, v102
	;; [unrolled: 1-line block ×15, first 2 shown]
	ds_read_b128 v[97:100], v81 offset:20480
	v_dot2c_f32_f16 v32, v92, v104
	v_dot2c_f32_f16 v78, v89, v85
	;; [unrolled: 1-line block ×15, first 2 shown]
	ds_read_b128 v[101:104], v81 offset:20736
	v_dot2c_f32_f16 v33, v92, v87
	v_dot2c_f32_f16 v24, v92, v88
	ds_read_b128 v[85:88], v80 offset:4352
	ds_read_b128 v[89:92], v80 offset:4608
	s_waitcnt lgkmcnt(3)
	v_dot2c_f32_f16 v69, v93, v97
	v_dot2c_f32_f16 v70, v93, v98
	;; [unrolled: 1-line block ×16, first 2 shown]
	s_waitcnt lgkmcnt(2)
	v_dot2c_f32_f16 v79, v93, v101
	v_dot2c_f32_f16 v76, v93, v102
	;; [unrolled: 1-line block ×16, first 2 shown]
	s_waitcnt lgkmcnt(1)
	v_dot2c_f32_f16 v61, v85, v97
	v_dot2c_f32_f16 v62, v85, v98
	;; [unrolled: 1-line block ×15, first 2 shown]
	ds_read_b128 v[93:96], v81 offset:20992
	v_dot2c_f32_f16 v32, v88, v100
	v_dot2c_f32_f16 v78, v85, v101
	;; [unrolled: 1-line block ×15, first 2 shown]
	ds_read_b128 v[97:100], v81 offset:21248
	v_dot2c_f32_f16 v33, v88, v103
	v_dot2c_f32_f16 v24, v88, v104
	ds_read_b128 v[85:88], v80 offset:4864
	s_waitcnt lgkmcnt(2)
	v_dot2c_f32_f16 v69, v89, v93
	v_dot2c_f32_f16 v70, v89, v94
	;; [unrolled: 1-line block ×16, first 2 shown]
	s_waitcnt lgkmcnt(1)
	v_dot2c_f32_f16 v79, v89, v97
	v_dot2c_f32_f16 v76, v89, v98
	;; [unrolled: 1-line block ×16, first 2 shown]
	ds_read_b128 v[89:92], v80 offset:5120
	s_waitcnt lgkmcnt(1)
	v_dot2c_f32_f16 v61, v85, v93
	v_dot2c_f32_f16 v62, v85, v94
	;; [unrolled: 1-line block ×15, first 2 shown]
	ds_read_b128 v[101:104], v81 offset:21504
	v_dot2c_f32_f16 v32, v88, v96
	v_dot2c_f32_f16 v78, v85, v97
	;; [unrolled: 1-line block ×15, first 2 shown]
	ds_read_b128 v[93:96], v81 offset:21760
	v_dot2c_f32_f16 v33, v88, v99
	v_dot2c_f32_f16 v24, v88, v100
	ds_read_b128 v[85:88], v80 offset:5376
	s_waitcnt lgkmcnt(2)
	v_dot2c_f32_f16 v69, v89, v101
	v_dot2c_f32_f16 v70, v89, v102
	;; [unrolled: 1-line block ×16, first 2 shown]
	s_waitcnt lgkmcnt(1)
	v_dot2c_f32_f16 v79, v89, v93
	v_dot2c_f32_f16 v76, v89, v94
	;; [unrolled: 1-line block ×16, first 2 shown]
	ds_read_b128 v[89:92], v80 offset:5632
	s_waitcnt lgkmcnt(1)
	v_dot2c_f32_f16 v61, v85, v101
	v_dot2c_f32_f16 v62, v85, v102
	;; [unrolled: 1-line block ×15, first 2 shown]
	ds_read_b128 v[97:100], v81 offset:22016
	v_dot2c_f32_f16 v32, v88, v104
	v_dot2c_f32_f16 v78, v85, v93
	;; [unrolled: 1-line block ×15, first 2 shown]
	ds_read_b128 v[101:104], v81 offset:22272
	v_dot2c_f32_f16 v33, v88, v95
	v_dot2c_f32_f16 v24, v88, v96
	ds_read_b128 v[85:88], v80 offset:5888
	s_waitcnt lgkmcnt(2)
	v_dot2c_f32_f16 v69, v89, v97
	v_dot2c_f32_f16 v70, v89, v98
	;; [unrolled: 1-line block ×16, first 2 shown]
	s_waitcnt lgkmcnt(1)
	v_dot2c_f32_f16 v79, v89, v101
	v_dot2c_f32_f16 v76, v89, v102
	;; [unrolled: 1-line block ×16, first 2 shown]
	ds_read_b128 v[89:92], v80 offset:6144
	s_waitcnt lgkmcnt(1)
	v_dot2c_f32_f16 v61, v85, v97
	v_dot2c_f32_f16 v62, v85, v98
	;; [unrolled: 1-line block ×15, first 2 shown]
	ds_read_b128 v[93:96], v81 offset:22528
	v_dot2c_f32_f16 v32, v88, v100
	v_dot2c_f32_f16 v78, v85, v101
	;; [unrolled: 1-line block ×15, first 2 shown]
	ds_read_b128 v[97:100], v81 offset:22784
	v_dot2c_f32_f16 v33, v88, v103
	v_dot2c_f32_f16 v24, v88, v104
	ds_read_b128 v[85:88], v80 offset:6400
	s_waitcnt lgkmcnt(2)
	v_dot2c_f32_f16 v69, v89, v93
	v_dot2c_f32_f16 v70, v89, v94
	;; [unrolled: 1-line block ×16, first 2 shown]
	s_waitcnt lgkmcnt(1)
	v_dot2c_f32_f16 v79, v89, v97
	v_dot2c_f32_f16 v76, v89, v98
	;; [unrolled: 1-line block ×16, first 2 shown]
	ds_read_b128 v[89:92], v80 offset:6656
	s_waitcnt lgkmcnt(1)
	v_dot2c_f32_f16 v61, v85, v93
	v_dot2c_f32_f16 v62, v85, v94
	;; [unrolled: 1-line block ×15, first 2 shown]
	ds_read_b128 v[101:104], v81 offset:23040
	v_dot2c_f32_f16 v32, v88, v96
	v_dot2c_f32_f16 v78, v85, v97
	;; [unrolled: 1-line block ×15, first 2 shown]
	ds_read_b128 v[93:96], v81 offset:23296
	v_dot2c_f32_f16 v33, v88, v99
	v_dot2c_f32_f16 v24, v88, v100
	ds_read_b128 v[85:88], v80 offset:6912
	s_waitcnt lgkmcnt(2)
	v_dot2c_f32_f16 v69, v89, v101
	v_dot2c_f32_f16 v70, v89, v102
	;; [unrolled: 1-line block ×16, first 2 shown]
	s_waitcnt lgkmcnt(1)
	v_dot2c_f32_f16 v79, v89, v93
	v_dot2c_f32_f16 v76, v89, v94
	;; [unrolled: 1-line block ×16, first 2 shown]
	ds_read_b128 v[89:92], v80 offset:7168
	s_waitcnt lgkmcnt(1)
	v_dot2c_f32_f16 v61, v85, v101
	v_dot2c_f32_f16 v62, v85, v102
	;; [unrolled: 1-line block ×15, first 2 shown]
	ds_read_b128 v[97:100], v81 offset:23552
	v_dot2c_f32_f16 v32, v88, v104
	v_dot2c_f32_f16 v78, v85, v93
	;; [unrolled: 1-line block ×15, first 2 shown]
	ds_read_b128 v[101:104], v81 offset:23808
	v_dot2c_f32_f16 v33, v88, v95
	v_dot2c_f32_f16 v24, v88, v96
	ds_read_b128 v[85:88], v80 offset:7424
	s_waitcnt vmcnt(3)
	v_cndmask_b32_e64 v13, 0, v13, s3
	v_cndmask_b32_e64 v12, 0, v12, s3
	s_waitcnt lgkmcnt(2)
	v_dot2c_f32_f16 v69, v89, v97
	v_dot2c_f32_f16 v70, v89, v98
	;; [unrolled: 1-line block ×16, first 2 shown]
	s_waitcnt lgkmcnt(1)
	v_dot2c_f32_f16 v79, v89, v101
	v_dot2c_f32_f16 v76, v89, v102
	;; [unrolled: 1-line block ×16, first 2 shown]
	ds_read_b128 v[89:92], v80 offset:7680
	s_waitcnt lgkmcnt(1)
	v_dot2c_f32_f16 v61, v85, v97
	v_dot2c_f32_f16 v62, v85, v98
	;; [unrolled: 1-line block ×15, first 2 shown]
	ds_read_b128 v[93:96], v81 offset:24064
	v_dot2c_f32_f16 v32, v88, v100
	v_dot2c_f32_f16 v78, v85, v101
	;; [unrolled: 1-line block ×15, first 2 shown]
	ds_read_b128 v[97:100], v81 offset:24320
	v_dot2c_f32_f16 v33, v88, v103
	v_dot2c_f32_f16 v24, v88, v104
	ds_read_b128 v[85:88], v80 offset:7936
	v_cndmask_b32_e64 v15, 0, v15, s3
	v_cndmask_b32_e64 v14, 0, v14, s3
	s_waitcnt vmcnt(2)
	v_cndmask_b32_e64 v9, 0, v9, s2
	v_cndmask_b32_e64 v8, 0, v8, s2
	;; [unrolled: 1-line block ×4, first 2 shown]
	s_waitcnt vmcnt(1)
	v_cndmask_b32_e64 v7, 0, v7, s1
	v_cndmask_b32_e64 v6, 0, v6, s1
	;; [unrolled: 1-line block ×4, first 2 shown]
	s_waitcnt vmcnt(0)
	v_cndmask_b32_e32 v3, 0, v3, vcc_lo
	v_cndmask_b32_e32 v2, 0, v2, vcc_lo
	;; [unrolled: 1-line block ×4, first 2 shown]
	ds_write2st64_b32 v84, v12, v13 offset0:32 offset1:34
	ds_write2st64_b32 v84, v14, v15 offset0:36 offset1:38
	;; [unrolled: 1-line block ×8, first 2 shown]
	s_waitcnt lgkmcnt(0)
	s_barrier
	ds_read_b128 v[0:3], v80 offset:8192
	ds_read_b128 v[4:7], v81 offset:24576
	;; [unrolled: 1-line block ×4, first 2 shown]
	v_dot2c_f32_f16 v69, v89, v93
	v_dot2c_f32_f16 v70, v89, v94
	;; [unrolled: 1-line block ×64, first 2 shown]
	s_waitcnt lgkmcnt(2)
	v_dot2c_f32_f16 v69, v0, v4
	v_dot2c_f32_f16 v70, v0, v5
	v_dot2c_f32_f16 v46, v0, v6
	v_dot2c_f32_f16 v47, v0, v7
	v_dot2c_f32_f16 v63, v1, v4
	v_dot2c_f32_f16 v64, v1, v5
	v_dot2c_f32_f16 v40, v1, v6
	v_dot2c_f32_f16 v41, v1, v7
	v_dot2c_f32_f16 v56, v2, v4
	v_dot2c_f32_f16 v58, v2, v5
	v_dot2c_f32_f16 v37, v2, v6
	v_dot2c_f32_f16 v38, v2, v7
	v_dot2c_f32_f16 v52, v3, v4
	v_dot2c_f32_f16 v53, v3, v5
	v_dot2c_f32_f16 v27, v3, v6
	v_dot2c_f32_f16 v28, v3, v7
	ds_read_b128 v[84:87], v81 offset:25088
	s_waitcnt lgkmcnt(2)
	v_dot2c_f32_f16 v79, v0, v8
	v_dot2c_f32_f16 v76, v0, v9
	;; [unrolled: 1-line block ×16, first 2 shown]
	ds_read_b128 v[0:3], v80 offset:8704
	s_waitcnt lgkmcnt(2)
	v_dot2c_f32_f16 v61, v12, v4
	v_dot2c_f32_f16 v62, v12, v5
	;; [unrolled: 1-line block ×30, first 2 shown]
	ds_read_b128 v[4:7], v81 offset:25344
	v_dot2c_f32_f16 v33, v15, v10
	v_dot2c_f32_f16 v24, v15, v11
	ds_read_b128 v[8:11], v80 offset:8960
	s_waitcnt lgkmcnt(2)
	v_dot2c_f32_f16 v69, v0, v84
	v_dot2c_f32_f16 v70, v0, v85
	v_dot2c_f32_f16 v46, v0, v86
	v_dot2c_f32_f16 v47, v0, v87
	v_dot2c_f32_f16 v63, v1, v84
	v_dot2c_f32_f16 v64, v1, v85
	v_dot2c_f32_f16 v40, v1, v86
	v_dot2c_f32_f16 v41, v1, v87
	v_dot2c_f32_f16 v56, v2, v84
	v_dot2c_f32_f16 v58, v2, v85
	v_dot2c_f32_f16 v37, v2, v86
	v_dot2c_f32_f16 v38, v2, v87
	v_dot2c_f32_f16 v52, v3, v84
	v_dot2c_f32_f16 v53, v3, v85
	v_dot2c_f32_f16 v27, v3, v86
	v_dot2c_f32_f16 v28, v3, v87
	ds_read_b128 v[12:15], v81 offset:25600
	s_waitcnt lgkmcnt(2)
	v_dot2c_f32_f16 v79, v0, v4
	v_dot2c_f32_f16 v76, v0, v5
	v_dot2c_f32_f16 v44, v0, v6
	v_dot2c_f32_f16 v45, v0, v7
	v_dot2c_f32_f16 v77, v1, v4
	v_dot2c_f32_f16 v73, v1, v5
	v_dot2c_f32_f16 v42, v1, v6
	v_dot2c_f32_f16 v43, v1, v7
	v_dot2c_f32_f16 v71, v2, v4
	v_dot2c_f32_f16 v66, v2, v5
	v_dot2c_f32_f16 v36, v2, v6
	v_dot2c_f32_f16 v39, v2, v7
	v_dot2c_f32_f16 v65, v3, v4
	v_dot2c_f32_f16 v60, v3, v5
	;; [unrolled: 18-line block ×3, first 2 shown]
	v_dot2c_f32_f16 v31, v11, v86
	v_dot2c_f32_f16 v32, v11, v87
	;; [unrolled: 1-line block ×16, first 2 shown]
	ds_read_b128 v[84:87], v81 offset:25856
	v_dot2c_f32_f16 v33, v11, v6
	v_dot2c_f32_f16 v24, v11, v7
	ds_read_b128 v[4:7], v80 offset:9472
	s_waitcnt lgkmcnt(2)
	v_dot2c_f32_f16 v69, v0, v12
	v_dot2c_f32_f16 v70, v0, v13
	v_dot2c_f32_f16 v46, v0, v14
	v_dot2c_f32_f16 v47, v0, v15
	v_dot2c_f32_f16 v63, v1, v12
	v_dot2c_f32_f16 v64, v1, v13
	v_dot2c_f32_f16 v40, v1, v14
	v_dot2c_f32_f16 v41, v1, v15
	v_dot2c_f32_f16 v56, v2, v12
	v_dot2c_f32_f16 v58, v2, v13
	v_dot2c_f32_f16 v37, v2, v14
	v_dot2c_f32_f16 v38, v2, v15
	v_dot2c_f32_f16 v52, v3, v12
	v_dot2c_f32_f16 v53, v3, v13
	v_dot2c_f32_f16 v27, v3, v14
	v_dot2c_f32_f16 v28, v3, v15
	ds_read_b128 v[8:11], v81 offset:26112
	s_waitcnt lgkmcnt(2)
	v_dot2c_f32_f16 v79, v0, v84
	v_dot2c_f32_f16 v76, v0, v85
	v_dot2c_f32_f16 v44, v0, v86
	v_dot2c_f32_f16 v45, v0, v87
	v_dot2c_f32_f16 v77, v1, v84
	v_dot2c_f32_f16 v73, v1, v85
	v_dot2c_f32_f16 v42, v1, v86
	v_dot2c_f32_f16 v43, v1, v87
	v_dot2c_f32_f16 v71, v2, v84
	v_dot2c_f32_f16 v66, v2, v85
	v_dot2c_f32_f16 v36, v2, v86
	v_dot2c_f32_f16 v39, v2, v87
	v_dot2c_f32_f16 v65, v3, v84
	v_dot2c_f32_f16 v60, v3, v85
	;; [unrolled: 18-line block ×3, first 2 shown]
	v_dot2c_f32_f16 v31, v7, v14
	v_dot2c_f32_f16 v32, v7, v15
	;; [unrolled: 1-line block ×16, first 2 shown]
	ds_read_b128 v[12:15], v81 offset:26368
	v_dot2c_f32_f16 v33, v7, v86
	v_dot2c_f32_f16 v24, v7, v87
	ds_read_b128 v[4:7], v80 offset:9984
	s_waitcnt lgkmcnt(2)
	v_dot2c_f32_f16 v69, v0, v8
	v_dot2c_f32_f16 v70, v0, v9
	v_dot2c_f32_f16 v46, v0, v10
	v_dot2c_f32_f16 v47, v0, v11
	v_dot2c_f32_f16 v63, v1, v8
	v_dot2c_f32_f16 v64, v1, v9
	v_dot2c_f32_f16 v40, v1, v10
	v_dot2c_f32_f16 v41, v1, v11
	v_dot2c_f32_f16 v56, v2, v8
	v_dot2c_f32_f16 v58, v2, v9
	v_dot2c_f32_f16 v37, v2, v10
	v_dot2c_f32_f16 v38, v2, v11
	v_dot2c_f32_f16 v52, v3, v8
	v_dot2c_f32_f16 v53, v3, v9
	v_dot2c_f32_f16 v27, v3, v10
	v_dot2c_f32_f16 v28, v3, v11
	ds_read_b128 v[84:87], v81 offset:26624
	s_waitcnt lgkmcnt(2)
	v_dot2c_f32_f16 v79, v0, v12
	v_dot2c_f32_f16 v76, v0, v13
	v_dot2c_f32_f16 v44, v0, v14
	v_dot2c_f32_f16 v45, v0, v15
	v_dot2c_f32_f16 v77, v1, v12
	v_dot2c_f32_f16 v73, v1, v13
	v_dot2c_f32_f16 v42, v1, v14
	v_dot2c_f32_f16 v43, v1, v15
	v_dot2c_f32_f16 v71, v2, v12
	v_dot2c_f32_f16 v66, v2, v13
	v_dot2c_f32_f16 v36, v2, v14
	v_dot2c_f32_f16 v39, v2, v15
	v_dot2c_f32_f16 v65, v3, v12
	v_dot2c_f32_f16 v60, v3, v13
	;; [unrolled: 18-line block ×3, first 2 shown]
	v_dot2c_f32_f16 v31, v7, v10
	v_dot2c_f32_f16 v32, v7, v11
	;; [unrolled: 1-line block ×16, first 2 shown]
	ds_read_b128 v[8:11], v81 offset:26880
	v_dot2c_f32_f16 v33, v7, v14
	v_dot2c_f32_f16 v24, v7, v15
	ds_read_b128 v[4:7], v80 offset:10496
	s_waitcnt lgkmcnt(2)
	v_dot2c_f32_f16 v69, v0, v84
	v_dot2c_f32_f16 v70, v0, v85
	v_dot2c_f32_f16 v46, v0, v86
	v_dot2c_f32_f16 v47, v0, v87
	v_dot2c_f32_f16 v63, v1, v84
	v_dot2c_f32_f16 v64, v1, v85
	v_dot2c_f32_f16 v40, v1, v86
	v_dot2c_f32_f16 v41, v1, v87
	v_dot2c_f32_f16 v56, v2, v84
	v_dot2c_f32_f16 v58, v2, v85
	v_dot2c_f32_f16 v37, v2, v86
	v_dot2c_f32_f16 v38, v2, v87
	v_dot2c_f32_f16 v52, v3, v84
	v_dot2c_f32_f16 v53, v3, v85
	v_dot2c_f32_f16 v27, v3, v86
	v_dot2c_f32_f16 v28, v3, v87
	ds_read_b128 v[12:15], v81 offset:27136
	s_waitcnt lgkmcnt(2)
	v_dot2c_f32_f16 v79, v0, v8
	v_dot2c_f32_f16 v76, v0, v9
	v_dot2c_f32_f16 v44, v0, v10
	v_dot2c_f32_f16 v45, v0, v11
	v_dot2c_f32_f16 v77, v1, v8
	v_dot2c_f32_f16 v73, v1, v9
	v_dot2c_f32_f16 v42, v1, v10
	v_dot2c_f32_f16 v43, v1, v11
	v_dot2c_f32_f16 v71, v2, v8
	v_dot2c_f32_f16 v66, v2, v9
	v_dot2c_f32_f16 v36, v2, v10
	v_dot2c_f32_f16 v39, v2, v11
	v_dot2c_f32_f16 v65, v3, v8
	v_dot2c_f32_f16 v60, v3, v9
	;; [unrolled: 18-line block ×3, first 2 shown]
	v_dot2c_f32_f16 v31, v7, v86
	v_dot2c_f32_f16 v32, v7, v87
	;; [unrolled: 1-line block ×16, first 2 shown]
	ds_read_b128 v[84:87], v81 offset:27392
	v_dot2c_f32_f16 v33, v7, v10
	v_dot2c_f32_f16 v24, v7, v11
	ds_read_b128 v[4:7], v80 offset:11008
	s_waitcnt lgkmcnt(2)
	v_dot2c_f32_f16 v69, v0, v12
	v_dot2c_f32_f16 v70, v0, v13
	v_dot2c_f32_f16 v46, v0, v14
	v_dot2c_f32_f16 v47, v0, v15
	v_dot2c_f32_f16 v63, v1, v12
	v_dot2c_f32_f16 v64, v1, v13
	v_dot2c_f32_f16 v40, v1, v14
	v_dot2c_f32_f16 v41, v1, v15
	v_dot2c_f32_f16 v56, v2, v12
	v_dot2c_f32_f16 v58, v2, v13
	v_dot2c_f32_f16 v37, v2, v14
	v_dot2c_f32_f16 v38, v2, v15
	v_dot2c_f32_f16 v52, v3, v12
	v_dot2c_f32_f16 v53, v3, v13
	v_dot2c_f32_f16 v27, v3, v14
	v_dot2c_f32_f16 v28, v3, v15
	ds_read_b128 v[8:11], v81 offset:27648
	s_waitcnt lgkmcnt(2)
	v_dot2c_f32_f16 v79, v0, v84
	v_dot2c_f32_f16 v76, v0, v85
	v_dot2c_f32_f16 v44, v0, v86
	v_dot2c_f32_f16 v45, v0, v87
	v_dot2c_f32_f16 v77, v1, v84
	v_dot2c_f32_f16 v73, v1, v85
	v_dot2c_f32_f16 v42, v1, v86
	v_dot2c_f32_f16 v43, v1, v87
	v_dot2c_f32_f16 v71, v2, v84
	v_dot2c_f32_f16 v66, v2, v85
	v_dot2c_f32_f16 v36, v2, v86
	v_dot2c_f32_f16 v39, v2, v87
	v_dot2c_f32_f16 v65, v3, v84
	v_dot2c_f32_f16 v60, v3, v85
	;; [unrolled: 18-line block ×3, first 2 shown]
	v_dot2c_f32_f16 v31, v7, v14
	v_dot2c_f32_f16 v32, v7, v15
	;; [unrolled: 1-line block ×16, first 2 shown]
	ds_read_b128 v[12:15], v81 offset:27904
	v_dot2c_f32_f16 v33, v7, v86
	v_dot2c_f32_f16 v24, v7, v87
	ds_read_b128 v[4:7], v80 offset:11520
	s_waitcnt lgkmcnt(2)
	v_dot2c_f32_f16 v69, v0, v8
	v_dot2c_f32_f16 v70, v0, v9
	v_dot2c_f32_f16 v46, v0, v10
	v_dot2c_f32_f16 v47, v0, v11
	v_dot2c_f32_f16 v63, v1, v8
	v_dot2c_f32_f16 v64, v1, v9
	v_dot2c_f32_f16 v40, v1, v10
	v_dot2c_f32_f16 v41, v1, v11
	v_dot2c_f32_f16 v56, v2, v8
	v_dot2c_f32_f16 v58, v2, v9
	v_dot2c_f32_f16 v37, v2, v10
	v_dot2c_f32_f16 v38, v2, v11
	v_dot2c_f32_f16 v52, v3, v8
	v_dot2c_f32_f16 v53, v3, v9
	v_dot2c_f32_f16 v27, v3, v10
	v_dot2c_f32_f16 v28, v3, v11
	ds_read_b128 v[84:87], v81 offset:28160
	s_waitcnt lgkmcnt(2)
	v_dot2c_f32_f16 v79, v0, v12
	v_dot2c_f32_f16 v76, v0, v13
	v_dot2c_f32_f16 v44, v0, v14
	v_dot2c_f32_f16 v45, v0, v15
	v_dot2c_f32_f16 v77, v1, v12
	v_dot2c_f32_f16 v73, v1, v13
	v_dot2c_f32_f16 v42, v1, v14
	v_dot2c_f32_f16 v43, v1, v15
	v_dot2c_f32_f16 v71, v2, v12
	v_dot2c_f32_f16 v66, v2, v13
	v_dot2c_f32_f16 v36, v2, v14
	v_dot2c_f32_f16 v39, v2, v15
	v_dot2c_f32_f16 v65, v3, v12
	v_dot2c_f32_f16 v60, v3, v13
	;; [unrolled: 18-line block ×3, first 2 shown]
	v_dot2c_f32_f16 v31, v7, v10
	v_dot2c_f32_f16 v32, v7, v11
	;; [unrolled: 1-line block ×16, first 2 shown]
	ds_read_b128 v[8:11], v81 offset:28416
	v_dot2c_f32_f16 v33, v7, v14
	v_dot2c_f32_f16 v24, v7, v15
	ds_read_b128 v[4:7], v80 offset:12032
	s_waitcnt lgkmcnt(2)
	v_dot2c_f32_f16 v69, v0, v84
	v_dot2c_f32_f16 v70, v0, v85
	v_dot2c_f32_f16 v46, v0, v86
	v_dot2c_f32_f16 v47, v0, v87
	v_dot2c_f32_f16 v63, v1, v84
	v_dot2c_f32_f16 v64, v1, v85
	v_dot2c_f32_f16 v40, v1, v86
	v_dot2c_f32_f16 v41, v1, v87
	v_dot2c_f32_f16 v56, v2, v84
	v_dot2c_f32_f16 v58, v2, v85
	v_dot2c_f32_f16 v37, v2, v86
	v_dot2c_f32_f16 v38, v2, v87
	v_dot2c_f32_f16 v52, v3, v84
	v_dot2c_f32_f16 v53, v3, v85
	v_dot2c_f32_f16 v27, v3, v86
	v_dot2c_f32_f16 v28, v3, v87
	ds_read_b128 v[12:15], v81 offset:28672
	s_waitcnt lgkmcnt(2)
	v_dot2c_f32_f16 v79, v0, v8
	v_dot2c_f32_f16 v76, v0, v9
	v_dot2c_f32_f16 v44, v0, v10
	v_dot2c_f32_f16 v45, v0, v11
	v_dot2c_f32_f16 v77, v1, v8
	v_dot2c_f32_f16 v73, v1, v9
	v_dot2c_f32_f16 v42, v1, v10
	v_dot2c_f32_f16 v43, v1, v11
	v_dot2c_f32_f16 v71, v2, v8
	v_dot2c_f32_f16 v66, v2, v9
	v_dot2c_f32_f16 v36, v2, v10
	v_dot2c_f32_f16 v39, v2, v11
	v_dot2c_f32_f16 v65, v3, v8
	v_dot2c_f32_f16 v60, v3, v9
	;; [unrolled: 18-line block ×3, first 2 shown]
	v_dot2c_f32_f16 v31, v7, v86
	v_dot2c_f32_f16 v32, v7, v87
	;; [unrolled: 1-line block ×16, first 2 shown]
	ds_read_b128 v[84:87], v81 offset:28928
	v_dot2c_f32_f16 v33, v7, v10
	v_dot2c_f32_f16 v24, v7, v11
	ds_read_b128 v[4:7], v80 offset:12544
	s_waitcnt lgkmcnt(2)
	v_dot2c_f32_f16 v69, v0, v12
	v_dot2c_f32_f16 v70, v0, v13
	v_dot2c_f32_f16 v46, v0, v14
	v_dot2c_f32_f16 v47, v0, v15
	v_dot2c_f32_f16 v63, v1, v12
	v_dot2c_f32_f16 v64, v1, v13
	v_dot2c_f32_f16 v40, v1, v14
	v_dot2c_f32_f16 v41, v1, v15
	v_dot2c_f32_f16 v56, v2, v12
	v_dot2c_f32_f16 v58, v2, v13
	v_dot2c_f32_f16 v37, v2, v14
	v_dot2c_f32_f16 v38, v2, v15
	v_dot2c_f32_f16 v52, v3, v12
	v_dot2c_f32_f16 v53, v3, v13
	v_dot2c_f32_f16 v27, v3, v14
	v_dot2c_f32_f16 v28, v3, v15
	ds_read_b128 v[8:11], v81 offset:29184
	s_waitcnt lgkmcnt(2)
	v_dot2c_f32_f16 v79, v0, v84
	v_dot2c_f32_f16 v76, v0, v85
	v_dot2c_f32_f16 v44, v0, v86
	v_dot2c_f32_f16 v45, v0, v87
	v_dot2c_f32_f16 v77, v1, v84
	v_dot2c_f32_f16 v73, v1, v85
	v_dot2c_f32_f16 v42, v1, v86
	v_dot2c_f32_f16 v43, v1, v87
	v_dot2c_f32_f16 v71, v2, v84
	v_dot2c_f32_f16 v66, v2, v85
	v_dot2c_f32_f16 v36, v2, v86
	v_dot2c_f32_f16 v39, v2, v87
	v_dot2c_f32_f16 v65, v3, v84
	v_dot2c_f32_f16 v60, v3, v85
	;; [unrolled: 18-line block ×3, first 2 shown]
	v_dot2c_f32_f16 v31, v7, v14
	v_dot2c_f32_f16 v32, v7, v15
	;; [unrolled: 1-line block ×16, first 2 shown]
	ds_read_b128 v[12:15], v81 offset:29440
	v_dot2c_f32_f16 v33, v7, v86
	v_dot2c_f32_f16 v24, v7, v87
	ds_read_b128 v[4:7], v80 offset:13056
	s_waitcnt lgkmcnt(2)
	v_dot2c_f32_f16 v69, v0, v8
	v_dot2c_f32_f16 v70, v0, v9
	v_dot2c_f32_f16 v46, v0, v10
	v_dot2c_f32_f16 v47, v0, v11
	v_dot2c_f32_f16 v63, v1, v8
	v_dot2c_f32_f16 v64, v1, v9
	v_dot2c_f32_f16 v40, v1, v10
	v_dot2c_f32_f16 v41, v1, v11
	v_dot2c_f32_f16 v56, v2, v8
	v_dot2c_f32_f16 v58, v2, v9
	v_dot2c_f32_f16 v37, v2, v10
	v_dot2c_f32_f16 v38, v2, v11
	v_dot2c_f32_f16 v52, v3, v8
	v_dot2c_f32_f16 v53, v3, v9
	v_dot2c_f32_f16 v27, v3, v10
	v_dot2c_f32_f16 v28, v3, v11
	ds_read_b128 v[84:87], v81 offset:29696
	s_waitcnt lgkmcnt(2)
	v_dot2c_f32_f16 v79, v0, v12
	v_dot2c_f32_f16 v76, v0, v13
	v_dot2c_f32_f16 v44, v0, v14
	v_dot2c_f32_f16 v45, v0, v15
	v_dot2c_f32_f16 v77, v1, v12
	v_dot2c_f32_f16 v73, v1, v13
	v_dot2c_f32_f16 v42, v1, v14
	v_dot2c_f32_f16 v43, v1, v15
	v_dot2c_f32_f16 v71, v2, v12
	v_dot2c_f32_f16 v66, v2, v13
	v_dot2c_f32_f16 v36, v2, v14
	v_dot2c_f32_f16 v39, v2, v15
	v_dot2c_f32_f16 v65, v3, v12
	v_dot2c_f32_f16 v60, v3, v13
	;; [unrolled: 18-line block ×3, first 2 shown]
	v_dot2c_f32_f16 v31, v7, v10
	v_dot2c_f32_f16 v32, v7, v11
	ds_read_b128 v[8:11], v81 offset:29952
	ds_read_b128 v[88:91], v80 offset:13568
	v_dot2c_f32_f16 v78, v4, v12
	v_dot2c_f32_f16 v75, v4, v13
	;; [unrolled: 1-line block ×16, first 2 shown]
	s_waitcnt lgkmcnt(2)
	v_dot2c_f32_f16 v69, v0, v84
	v_dot2c_f32_f16 v70, v0, v85
	;; [unrolled: 1-line block ×16, first 2 shown]
	ds_read_b128 v[12:15], v81 offset:30208
	s_waitcnt lgkmcnt(2)
	v_dot2c_f32_f16 v79, v0, v8
	v_dot2c_f32_f16 v76, v0, v9
	;; [unrolled: 1-line block ×16, first 2 shown]
	ds_read_b128 v[0:3], v80 offset:13824
	s_waitcnt lgkmcnt(2)
	v_dot2c_f32_f16 v78, v88, v8
	v_dot2c_f32_f16 v75, v88, v9
	;; [unrolled: 1-line block ×14, first 2 shown]
	ds_read_b128 v[4:7], v81 offset:30464
	v_dot2c_f32_f16 v33, v91, v10
	v_dot2c_f32_f16 v24, v91, v11
	ds_read_b128 v[8:11], v80 offset:14080
	v_dot2c_f32_f16 v61, v88, v84
	v_dot2c_f32_f16 v54, v89, v84
	;; [unrolled: 1-line block ×4, first 2 shown]
	v_mul_lo_u32 v84, v83, s22
	v_dot2c_f32_f16 v62, v88, v85
	v_dot2c_f32_f16 v57, v89, v85
	;; [unrolled: 1-line block ×6, first 2 shown]
	s_waitcnt lgkmcnt(2)
	v_dot2c_f32_f16 v69, v0, v12
	v_mad_u64_u32 v[84:85], null, v82, s23, v[84:85]
	v_dot2c_f32_f16 v70, v0, v13
	v_dot2c_f32_f16 v46, v0, v14
	;; [unrolled: 1-line block ×15, first 2 shown]
	s_waitcnt lgkmcnt(1)
	v_dot2c_f32_f16 v79, v0, v4
	v_dot2c_f32_f16 v76, v0, v5
	;; [unrolled: 1-line block ×16, first 2 shown]
	ds_read_b128 v[0:3], v80 offset:14336
	s_waitcnt lgkmcnt(1)
	v_dot2c_f32_f16 v61, v8, v12
	v_dot2c_f32_f16 v62, v8, v13
	;; [unrolled: 1-line block ×8, first 2 shown]
	v_lshlrev_b32_e32 v8, 1, v84
	v_dot2c_f32_f16 v20, v89, v86
	v_dot2c_f32_f16 v21, v89, v87
	v_dot2c_f32_f16 v25, v90, v86
	v_dot2c_f32_f16 v26, v90, v87
	buffer_load_dwordx2 v[88:89], v8, s[28:31], 0 offen
	v_add_lshl_u32 v8, v84, s0, 1
	v_dot2c_f32_f16 v31, v91, v86
	v_dot2c_f32_f16 v32, v91, v87
	v_add_nc_u32_e32 v84, s22, v84
	v_dot2c_f32_f16 v54, v9, v12
	buffer_load_dwordx2 v[90:91], v8, s[28:31], 0 offen
	v_dot2c_f32_f16 v57, v9, v13
	v_dot2c_f32_f16 v20, v9, v14
	v_lshlrev_b32_e32 v85, 1, v84
	v_dot2c_f32_f16 v21, v9, v15
	v_dot2c_f32_f16 v50, v10, v12
	;; [unrolled: 1-line block ×4, first 2 shown]
	buffer_load_dwordx2 v[92:93], v85, s[28:31], 0 offen
	v_dot2c_f32_f16 v26, v10, v15
	v_dot2c_f32_f16 v48, v11, v12
	;; [unrolled: 1-line block ×5, first 2 shown]
	ds_read_b128 v[12:15], v81 offset:30720
	v_dot2c_f32_f16 v74, v9, v4
	v_dot2c_f32_f16 v72, v9, v5
	;; [unrolled: 1-line block ×12, first 2 shown]
	ds_read_b128 v[4:7], v81 offset:30976
	v_add_lshl_u32 v86, v84, s0, 1
	v_add_nc_u32_e32 v84, s22, v84
	v_cmp_gt_i32_e32 vcc_lo, s21, v82
	buffer_load_dwordx2 v[94:95], v86, s[28:31], 0 offen
	v_lshlrev_b32_e32 v85, 1, v84
	v_add_lshl_u32 v86, v84, s0, 1
	v_add_nc_u32_e32 v84, s22, v84
	s_waitcnt lgkmcnt(1)
	v_dot2c_f32_f16 v69, v0, v12
	v_dot2c_f32_f16 v70, v0, v13
	s_clause 0x1
	buffer_load_dwordx2 v[96:97], v85, s[28:31], 0 offen
	buffer_load_dwordx2 v[98:99], v86, s[28:31], 0 offen
	v_dot2c_f32_f16 v46, v0, v14
	v_dot2c_f32_f16 v47, v0, v15
	v_add_lshl_u32 v85, v84, s0, 1
	v_dot2c_f32_f16 v63, v1, v12
	v_dot2c_f32_f16 v64, v1, v13
	;; [unrolled: 1-line block ×3, first 2 shown]
	s_waitcnt lgkmcnt(0)
	v_dot2c_f32_f16 v79, v0, v4
	v_dot2c_f32_f16 v76, v0, v5
	;; [unrolled: 1-line block ×4, first 2 shown]
	v_lshlrev_b32_e32 v0, 1, v84
	buffer_load_dwordx2 v[102:103], v85, s[28:31], 0 offen
	v_mad_u64_u32 v[84:85], null, s22, 61, v[84:85]
	v_dot2c_f32_f16 v41, v1, v15
	buffer_load_dwordx2 v[100:101], v0, s[28:31], 0 offen
	ds_read_b128 v[8:11], v80 offset:14592
	v_dot2c_f32_f16 v56, v2, v12
	v_dot2c_f32_f16 v58, v2, v13
	;; [unrolled: 1-line block ×3, first 2 shown]
	v_lshlrev_b32_e32 v85, 1, v84
	v_add_lshl_u32 v86, v84, s0, 1
	v_add_nc_u32_e32 v84, s22, v84
	v_dot2c_f32_f16 v38, v2, v15
	v_dot2c_f32_f16 v52, v3, v12
	s_clause 0x1
	buffer_load_dwordx2 v[104:105], v85, s[28:31], 0 offen
	buffer_load_dwordx2 v[106:107], v86, s[28:31], 0 offen
	v_dot2c_f32_f16 v53, v3, v13
	v_dot2c_f32_f16 v27, v3, v14
	;; [unrolled: 1-line block ×15, first 2 shown]
	ds_read_b128 v[0:3], v80 offset:14848
	s_waitcnt lgkmcnt(1)
	v_dot2c_f32_f16 v61, v8, v12
	v_dot2c_f32_f16 v62, v8, v13
	;; [unrolled: 1-line block ×16, first 2 shown]
	v_lshlrev_b32_e32 v8, 1, v84
	v_add_lshl_u32 v9, v84, s0, 1
	v_dot2c_f32_f16 v50, v10, v12
	v_dot2c_f32_f16 v51, v10, v13
	;; [unrolled: 1-line block ×8, first 2 shown]
	ds_read_b128 v[12:15], v81 offset:31232
	v_dot2c_f32_f16 v67, v10, v4
	v_dot2c_f32_f16 v68, v10, v5
	;; [unrolled: 1-line block ×5, first 2 shown]
	s_clause 0x1
	buffer_load_dwordx2 v[108:109], v8, s[28:31], 0 offen
	buffer_load_dwordx2 v[110:111], v9, s[28:31], 0 offen
	v_dot2c_f32_f16 v55, v11, v5
	v_dot2c_f32_f16 v33, v11, v6
	;; [unrolled: 1-line block ×3, first 2 shown]
	ds_read_b128 v[4:7], v81 offset:31488
	ds_read_b128 v[8:11], v80 offset:15104
	v_add_nc_u32_e32 v84, s22, v84
	v_lshlrev_b32_e32 v85, 1, v84
	s_waitcnt lgkmcnt(2)
	v_dot2c_f32_f16 v69, v0, v12
	v_dot2c_f32_f16 v70, v0, v13
	buffer_load_dwordx2 v[112:113], v85, s[28:31], 0 offen
	v_add_lshl_u32 v85, v84, s0, 1
	v_add_nc_u32_e32 v84, s22, v84
	v_dot2c_f32_f16 v46, v0, v14
	v_dot2c_f32_f16 v47, v0, v15
	v_dot2c_f32_f16 v63, v1, v12
	buffer_load_dwordx2 v[114:115], v85, s[28:31], 0 offen
	v_dot2c_f32_f16 v64, v1, v13
	s_waitcnt lgkmcnt(1)
	v_dot2c_f32_f16 v79, v0, v4
	v_dot2c_f32_f16 v76, v0, v5
	v_dot2c_f32_f16 v44, v0, v6
	v_dot2c_f32_f16 v45, v0, v7
	v_add_lshl_u32 v0, v84, s0, 1
	v_dot2c_f32_f16 v40, v1, v14
	v_dot2c_f32_f16 v41, v1, v15
	;; [unrolled: 1-line block ×4, first 2 shown]
	buffer_load_dwordx2 v[118:119], v0, s[28:31], 0 offen
	v_lshlrev_b32_e32 v85, 1, v84
	v_dot2c_f32_f16 v37, v2, v14
	v_dot2c_f32_f16 v38, v2, v15
	;; [unrolled: 1-line block ×4, first 2 shown]
	buffer_load_dwordx2 v[116:117], v85, s[28:31], 0 offen
	v_dot2c_f32_f16 v27, v3, v14
	v_dot2c_f32_f16 v28, v3, v15
	;; [unrolled: 1-line block ×14, first 2 shown]
	ds_read_b128 v[0:3], v80 offset:15360
	s_waitcnt lgkmcnt(1)
	v_dot2c_f32_f16 v61, v8, v12
	v_dot2c_f32_f16 v62, v8, v13
	v_dot2c_f32_f16 v16, v8, v14
	v_dot2c_f32_f16 v17, v8, v15
	v_dot2c_f32_f16 v54, v9, v12
	v_dot2c_f32_f16 v57, v9, v13
	v_dot2c_f32_f16 v20, v9, v14
	v_dot2c_f32_f16 v21, v9, v15
	v_dot2c_f32_f16 v50, v10, v12
	v_dot2c_f32_f16 v51, v10, v13
	v_dot2c_f32_f16 v25, v10, v14
	v_dot2c_f32_f16 v26, v10, v15
	v_dot2c_f32_f16 v48, v11, v12
	v_dot2c_f32_f16 v49, v11, v13
	v_dot2c_f32_f16 v31, v11, v14
	ds_read_b128 v[84:87], v81 offset:31744
	v_dot2c_f32_f16 v32, v11, v15
	v_dot2c_f32_f16 v78, v8, v4
	;; [unrolled: 1-line block ×15, first 2 shown]
	ds_read_b128 v[12:15], v81 offset:32000
	v_dot2c_f32_f16 v33, v11, v6
	v_dot2c_f32_f16 v24, v11, v7
	ds_read_b128 v[4:7], v80 offset:15616
	s_waitcnt lgkmcnt(2)
	v_dot2c_f32_f16 v69, v0, v84
	v_dot2c_f32_f16 v70, v0, v85
	v_dot2c_f32_f16 v46, v0, v86
	v_dot2c_f32_f16 v47, v0, v87
	v_dot2c_f32_f16 v63, v1, v84
	v_dot2c_f32_f16 v64, v1, v85
	v_dot2c_f32_f16 v40, v1, v86
	v_dot2c_f32_f16 v41, v1, v87
	v_dot2c_f32_f16 v56, v2, v84
	v_dot2c_f32_f16 v58, v2, v85
	v_dot2c_f32_f16 v37, v2, v86
	v_dot2c_f32_f16 v38, v2, v87
	v_dot2c_f32_f16 v52, v3, v84
	v_dot2c_f32_f16 v53, v3, v85
	v_dot2c_f32_f16 v27, v3, v86
	v_dot2c_f32_f16 v28, v3, v87
	s_waitcnt lgkmcnt(1)
	v_dot2c_f32_f16 v79, v0, v12
	v_dot2c_f32_f16 v76, v0, v13
	;; [unrolled: 1-line block ×16, first 2 shown]
	ds_read_b128 v[0:3], v80 offset:15872
	s_waitcnt lgkmcnt(1)
	v_dot2c_f32_f16 v61, v4, v84
	v_dot2c_f32_f16 v62, v4, v85
	;; [unrolled: 1-line block ×15, first 2 shown]
	ds_read_b128 v[8:11], v81 offset:32256
	v_dot2c_f32_f16 v32, v7, v87
	v_dot2c_f32_f16 v78, v4, v12
	;; [unrolled: 1-line block ×17, first 2 shown]
	ds_read_b128 v[4:7], v80 offset:16128
	ds_read_b128 v[84:87], v81 offset:32512
	v_cmp_gt_i32_e64 s0, s19, v83
	s_waitcnt lgkmcnt(2)
	v_dot2c_f32_f16 v46, v0, v10
	v_dot2c_f32_f16 v40, v1, v10
	;; [unrolled: 1-line block ×4, first 2 shown]
	s_and_b32 s1, s0, vcc_lo
	v_dot2c_f32_f16 v69, v0, v8
	v_dot2c_f32_f16 v70, v0, v9
	;; [unrolled: 1-line block ×6, first 2 shown]
	v_or_b32_e32 v12, 1, v83
	v_dot2c_f32_f16 v64, v1, v9
	v_dot2c_f32_f16 v41, v1, v11
	;; [unrolled: 1-line block ×5, first 2 shown]
	s_waitcnt lgkmcnt(1)
	v_dot2c_f32_f16 v16, v4, v10
	v_dot2c_f32_f16 v20, v5, v10
	;; [unrolled: 1-line block ×4, first 2 shown]
	v_add_nc_u32_e32 v10, 64, v82
	s_waitcnt lgkmcnt(0)
	v_dot2c_f32_f16 v79, v0, v84
	v_dot2c_f32_f16 v76, v0, v85
	;; [unrolled: 1-line block ×17, first 2 shown]
	s_waitcnt vmcnt(15)
	v_cndmask_b32_e64 v8, 0, v89, s1
	v_cndmask_b32_e64 v0, 0, v88, s1
	v_cmp_gt_i32_e64 s1, s21, v10
	v_dot2c_f32_f16 v21, v5, v11
	v_dot2c_f32_f16 v26, v6, v11
	;; [unrolled: 1-line block ×3, first 2 shown]
	v_cvt_f32_f16_e32 v1, v0
	s_and_b32 s0, s0, s1
	v_cvt_f32_f16_sdwa v0, v0 dst_sel:DWORD dst_unused:UNUSED_PAD src0_sel:WORD_1
	s_waitcnt vmcnt(14)
	v_cndmask_b32_e64 v2, 0, v90, s0
	v_cndmask_b32_e64 v11, 0, v91, s0
	v_cmp_gt_i32_e64 s0, s19, v12
	v_dot2c_f32_f16 v53, v3, v9
	v_dot2c_f32_f16 v65, v3, v84
	;; [unrolled: 1-line block ×5, first 2 shown]
	v_add_f32_e32 v1, v69, v1
	v_add_f32_e32 v0, v70, v0
	v_cvt_f32_f16_e32 v3, v2
	s_and_b32 s2, s0, vcc_lo
	v_dot2c_f32_f16 v62, v4, v9
	v_dot2c_f32_f16 v57, v5, v9
	;; [unrolled: 1-line block ×4, first 2 shown]
	v_max_f32_e32 v9, 0, v1
	v_max_f32_e32 v13, 0, v0
	v_add_f32_e32 v0, v79, v3
	s_waitcnt vmcnt(13)
	v_cndmask_b32_e64 v1, 0, v92, s2
	v_or_b32_e32 v70, 2, v83
	s_and_b32 s0, s0, s1
	v_cvt_f32_f16_sdwa v2, v2 dst_sel:DWORD dst_unused:UNUSED_PAD src0_sel:WORD_1
	v_max_f32_e32 v69, 0, v0
	v_cvt_f32_f16_e32 v0, v1
	v_cvt_f32_f16_sdwa v1, v1 dst_sel:DWORD dst_unused:UNUSED_PAD src0_sel:WORD_1
	v_dot2c_f32_f16 v78, v4, v84
	v_dot2c_f32_f16 v75, v4, v85
	;; [unrolled: 1-line block ×3, first 2 shown]
	v_add_f32_e32 v0, v63, v0
	s_waitcnt vmcnt(12)
	v_cndmask_b32_e64 v3, 0, v94, s0
	v_cndmask_b32_e64 v15, 0, v95, s0
	v_cmp_gt_i32_e64 s0, s19, v70
	v_add_f32_e32 v1, v64, v1
	v_dot2c_f32_f16 v19, v4, v87
	v_cvt_f32_f16_e32 v4, v3
	v_add_f32_e32 v2, v76, v2
	v_cndmask_b32_e64 v14, 0, v93, s2
	s_and_b32 s2, s0, vcc_lo
	v_max_f32_e32 v64, 0, v0
	v_max_f32_e32 v76, 0, v1
	v_cvt_f32_f16_sdwa v0, v3 dst_sel:DWORD dst_unused:UNUSED_PAD src0_sel:WORD_1
	s_waitcnt vmcnt(11)
	v_cndmask_b32_e64 v1, 0, v96, s2
	s_and_b32 s0, s0, s1
	v_or_b32_e32 v81, 3, v83
	v_add_f32_e32 v4, v77, v4
	v_max_f32_e32 v63, 0, v2
	s_waitcnt vmcnt(10)
	v_cndmask_b32_e64 v2, 0, v98, s0
	v_cndmask_b32_e64 v80, 0, v99, s0
	v_add_f32_e32 v0, v73, v0
	v_cvt_f32_f16_e32 v3, v1
	v_cmp_gt_i32_e64 s0, s19, v81
	v_max_f32_e32 v77, 0, v4
	v_cvt_f32_f16_sdwa v1, v1 dst_sel:DWORD dst_unused:UNUSED_PAD src0_sel:WORD_1
	v_cvt_f32_f16_e32 v4, v2
	v_cndmask_b32_e64 v79, 0, v97, s2
	v_max_f32_e32 v73, 0, v0
	v_add_f32_e32 v0, v56, v3
	s_and_b32 s2, s0, vcc_lo
	v_add_f32_e32 v1, v58, v1
	v_add_f32_e32 v3, v71, v4
	s_waitcnt vmcnt(8)
	v_cndmask_b32_e64 v4, 0, v100, s2
	v_max_f32_e32 v58, 0, v0
	s_and_b32 s0, s0, s1
	v_or_b32_e32 v0, 64, v83
	v_dot2c_f32_f16 v74, v5, v84
	v_dot2c_f32_f16 v67, v6, v84
	v_dot2c_f32_f16 v59, v7, v84
	v_max_f32_e32 v71, 0, v1
	v_max_f32_e32 v84, 0, v3
	v_cvt_f32_f16_sdwa v1, v2 dst_sel:DWORD dst_unused:UNUSED_PAD src0_sel:WORD_1
	v_cvt_f32_f16_e32 v2, v4
	v_cvt_f32_f16_sdwa v3, v4 dst_sel:DWORD dst_unused:UNUSED_PAD src0_sel:WORD_1
	v_cndmask_b32_e64 v4, 0, v102, s0
	v_dot2c_f32_f16 v72, v5, v85
	v_dot2c_f32_f16 v68, v6, v85
	;; [unrolled: 1-line block ×3, first 2 shown]
	v_cndmask_b32_e64 v85, 0, v103, s0
	v_cmp_gt_i32_e64 s0, s19, v0
	v_dot2c_f32_f16 v22, v5, v86
	v_dot2c_f32_f16 v23, v5, v87
	v_cvt_f32_f16_e32 v5, v4
	v_cvt_f32_f16_sdwa v4, v4 dst_sel:DWORD dst_unused:UNUSED_PAD src0_sel:WORD_1
	v_add_f32_e32 v1, v66, v1
	v_add_f32_e32 v2, v52, v2
	v_cndmask_b32_e64 v56, 0, v101, s2
	s_and_b32 s2, s0, vcc_lo
	s_and_b32 s0, s0, s1
	v_dot2c_f32_f16 v33, v7, v86
	v_dot2c_f32_f16 v24, v7, v87
	s_waitcnt vmcnt(6)
	v_cndmask_b32_e64 v7, 0, v106, s0
	v_add_f32_e32 v60, v60, v4
	v_or_b32_e32 v4, 0x41, v83
	v_add_f32_e32 v3, v53, v3
	v_max_f32_e32 v52, 0, v1
	v_max_f32_e32 v53, 0, v2
	v_add_f32_e32 v1, v65, v5
	v_cndmask_b32_e64 v2, 0, v104, s2
	v_dot2c_f32_f16 v29, v6, v86
	v_dot2c_f32_f16 v30, v6, v87
	v_cndmask_b32_e64 v5, 0, v107, s0
	v_cvt_f32_f16_e32 v6, v7
	v_cmp_gt_i32_e64 s0, s19, v4
	v_cvt_f32_f16_sdwa v7, v7 dst_sel:DWORD dst_unused:UNUSED_PAD src0_sel:WORD_1
	v_max_f32_e32 v65, 0, v1
	v_cvt_f32_f16_e32 v1, v2
	v_cvt_f32_f16_sdwa v2, v2 dst_sel:DWORD dst_unused:UNUSED_PAD src0_sel:WORD_1
	v_max_f32_e32 v66, 0, v3
	v_cndmask_b32_e64 v3, 0, v105, s2
	s_and_b32 s2, s0, vcc_lo
	v_add_f32_e32 v7, v75, v7
	v_or_b32_e32 v75, 0x42, v83
	v_add_f32_e32 v2, v62, v2
	s_waitcnt vmcnt(5)
	v_cndmask_b32_e64 v62, 0, v108, s2
	s_and_b32 s0, s0, s1
	v_add_f32_e32 v6, v78, v6
	s_waitcnt vmcnt(4)
	v_cndmask_b32_e64 v78, 0, v111, s0
	v_cndmask_b32_e64 v86, 0, v110, s0
	v_cmp_gt_i32_e64 s0, s19, v75
	v_cvt_f32_f16_e32 v87, v62
	v_cvt_f32_f16_sdwa v62, v62 dst_sel:DWORD dst_unused:UNUSED_PAD src0_sel:WORD_1
	v_add_f32_e32 v1, v61, v1
	v_cndmask_b32_e64 v61, 0, v109, s2
	s_and_b32 s2, s0, vcc_lo
	v_cvt_f32_f16_e32 v88, v86
	v_max_f32_e32 v89, 0, v7
	v_add_f32_e32 v7, v54, v87
	v_add_f32_e32 v54, v57, v62
	v_cvt_f32_f16_sdwa v62, v86 dst_sel:DWORD dst_unused:UNUSED_PAD src0_sel:WORD_1
	s_waitcnt vmcnt(3)
	v_cndmask_b32_e64 v86, 0, v112, s2
	s_and_b32 s0, s0, s1
	v_max_f32_e32 v87, 0, v7
	v_add_f32_e32 v57, v74, v88
	v_add_f32_e32 v7, v72, v62
	v_cvt_f32_f16_e32 v62, v86
	v_cvt_f32_f16_sdwa v72, v86 dst_sel:DWORD dst_unused:UNUSED_PAD src0_sel:WORD_1
	v_or_b32_e32 v86, 0x43, v83
	s_waitcnt vmcnt(2)
	v_cndmask_b32_e64 v88, 0, v115, s0
	v_cndmask_b32_e64 v90, 0, v114, s0
	v_max_f32_e32 v91, 0, v7
	v_add_f32_e32 v7, v50, v62
	v_cmp_gt_i32_e64 s0, s19, v86
	v_add_f32_e32 v50, v51, v72
	v_cvt_f32_f16_e32 v51, v90
	v_cvt_f32_f16_sdwa v62, v90 dst_sel:DWORD dst_unused:UNUSED_PAD src0_sel:WORD_1
	v_max_f32_e32 v92, 0, v7
	s_and_b32 vcc_lo, s0, vcc_lo
	v_cvt_f16_f32_e32 v9, v9
	v_add_f32_e32 v7, v67, v51
	v_add_f32_e32 v51, v68, v62
	v_cvt_f16_f32_e32 v13, v13
	v_cndmask_b32_e64 v74, 0, v113, s2
	s_waitcnt vmcnt(0)
	v_cndmask_b32_e32 v90, 0, v116, vcc_lo
	v_cndmask_b32_e32 v72, 0, v117, vcc_lo
	s_and_b32 vcc_lo, s0, s1
	v_max_f32_e32 v93, 0, v7
	v_cndmask_b32_e32 v68, 0, v118, vcc_lo
	v_cvt_f32_f16_e32 v62, v90
	v_cvt_f32_f16_sdwa v90, v90 dst_sel:DWORD dst_unused:UNUSED_PAD src0_sel:WORD_1
	v_cndmask_b32_e32 v67, 0, v119, vcc_lo
	v_cmp_gt_i32_e32 vcc_lo, s18, v82
	v_cmp_gt_i32_e64 s1, s11, v83
	v_add_f32_e32 v7, v48, v62
	v_cvt_f32_f16_e32 v48, v68
	v_cvt_f32_f16_sdwa v62, v8 dst_sel:DWORD dst_unused:UNUSED_PAD src0_sel:WORD_1
	v_cvt_f32_f16_e32 v8, v8
	v_add_f32_e32 v49, v49, v90
	v_max_f32_e32 v90, 0, v7
	v_add_f32_e32 v7, v59, v48
	v_add_f32_e32 v47, v47, v62
	;; [unrolled: 1-line block ×3, first 2 shown]
	v_max_f32_e32 v48, 0, v49
	v_cvt_f32_f16_sdwa v46, v68 dst_sel:DWORD dst_unused:UNUSED_PAD src0_sel:WORD_1
	v_max_f32_e32 v49, 0, v7
	v_mul_lo_u32 v7, v83, s16
	v_max_f32_e32 v8, 0, v8
	v_max_f32_e32 v47, 0, v47
	v_add_f32_e32 v46, v55, v46
	s_and_b32 s0, s1, vcc_lo
	s_lshl_b32 s2, s17, 6
	v_cvt_f16_f32_e32 v55, v8
	v_cvt_f16_f32_e32 v47, v47
	v_mad_u64_u32 v[7:8], null, v82, s17, v[7:8]
	v_pack_b32_f16 v8, v9, v13
	v_cvt_f32_f16_sdwa v13, v11 dst_sel:DWORD dst_unused:UNUSED_PAD src0_sel:WORD_1
	v_cvt_f32_f16_e32 v11, v11
	v_pack_b32_f16 v9, v55, v47
	v_cvt_f16_f32_e32 v47, v63
	v_max_f32_e32 v60, 0, v60
	v_add_f32_e32 v13, v45, v13
	v_add_f32_e32 v11, v44, v11
	v_cndmask_b32_e64 v44, 0x80000000, 0, s0
	v_cmp_gt_i32_e64 s0, s18, v10
	v_cvt_f16_f32_e32 v10, v69
	v_max_f32_e32 v13, 0, v13
	v_max_f32_e32 v11, 0, v11
	v_add_nc_u32_e32 v45, s2, v7
	s_and_b32 s1, s1, s0
	v_lshl_add_u32 v44, v7, 1, v44
	v_cvt_f16_f32_e32 v13, v13
	v_cvt_f16_f32_e32 v11, v11
	v_cndmask_b32_e64 v55, 0x80000000, 0, s1
	v_pack_b32_f16 v10, v10, v47
	v_cvt_f32_f16_sdwa v47, v15 dst_sel:DWORD dst_unused:UNUSED_PAD src0_sel:WORD_1
	v_cvt_f32_f16_e32 v15, v15
	v_pack_b32_f16 v11, v11, v13
	v_lshl_add_u32 v13, v45, 1, v55
	buffer_store_dwordx2 v[8:9], v44, s[24:27], 0 offen
	buffer_store_dwordx2 v[10:11], v13, s[24:27], 0 offen
	v_add_f32_e32 v43, v43, v47
	v_add_f32_e32 v8, v42, v15
	v_cmp_gt_i32_e64 s1, s11, v12
	v_cvt_f32_f16_sdwa v12, v14 dst_sel:DWORD dst_unused:UNUSED_PAD src0_sel:WORD_1
	v_cvt_f32_f16_e32 v13, v14
	v_max_f32_e32 v9, 0, v43
	v_max_f32_e32 v8, 0, v8
	s_and_b32 s3, s1, s0
	v_add_nc_u32_e32 v15, s16, v45
	v_cvt_f16_f32_e32 v10, v77
	v_cvt_f16_f32_e32 v11, v73
	;; [unrolled: 1-line block ×4, first 2 shown]
	v_cndmask_b32_e64 v42, 0x80000000, 0, s3
	v_add_f32_e32 v12, v41, v12
	v_add_f32_e32 v13, v40, v13
	v_pack_b32_f16 v8, v10, v11
	v_pack_b32_f16 v9, v14, v9
	v_lshl_add_u32 v14, v15, 1, v42
	v_max_f32_e32 v10, 0, v12
	v_max_f32_e32 v11, 0, v13
	v_cvt_f16_f32_e32 v12, v64
	v_cvt_f16_f32_e32 v13, v76
	v_cvt_f32_f16_sdwa v41, v79 dst_sel:DWORD dst_unused:UNUSED_PAD src0_sel:WORD_1
	v_cvt_f32_f16_e32 v42, v79
	v_cvt_f16_f32_e32 v40, v10
	s_and_b32 s1, s1, vcc_lo
	v_pack_b32_f16 v10, v12, v13
	v_add_f32_e32 v12, v38, v41
	v_add_f32_e32 v13, v37, v42
	v_cndmask_b32_e64 v43, 0x80000000, 0, s1
	v_cmp_gt_i32_e64 s1, s11, v70
	v_add_nc_u32_e32 v7, s16, v7
	v_cvt_f16_f32_e32 v11, v11
	v_max_f32_e32 v12, 0, v12
	v_max_f32_e32 v13, 0, v13
	s_and_b32 s3, s1, vcc_lo
	v_lshl_add_u32 v37, v7, 1, v43
	v_pack_b32_f16 v11, v11, v40
	v_cvt_f16_f32_e32 v38, v58
	v_cvt_f16_f32_e32 v40, v71
	v_cvt_f32_f16_sdwa v43, v80 dst_sel:DWORD dst_unused:UNUSED_PAD src0_sel:WORD_1
	v_add_nc_u32_e32 v7, s16, v7
	v_cvt_f16_f32_e32 v41, v12
	v_cvt_f16_f32_e32 v13, v13
	v_cndmask_b32_e64 v42, 0x80000000, 0, s3
	v_pack_b32_f16 v12, v38, v40
	v_cvt_f32_f16_e32 v38, v80
	v_add_f32_e32 v39, v39, v43
	v_pack_b32_f16 v13, v13, v41
	v_lshl_add_u32 v7, v7, 1, v42
	buffer_store_dwordx2 v[8:9], v14, s[24:27], 0 offen
	v_add_f32_e32 v8, v36, v38
	buffer_store_dwordx2 v[10:11], v37, s[24:27], 0 offen
	buffer_store_dwordx2 v[12:13], v7, s[24:27], 0 offen
	v_max_f32_e32 v7, 0, v39
	v_cvt_f16_f32_e32 v9, v84
	v_max_f32_e32 v8, 0, v8
	v_cvt_f16_f32_e32 v10, v52
	v_cvt_f32_f16_e32 v12, v85
	v_cvt_f16_f32_e32 v11, v7
	v_cvt_f32_f16_sdwa v7, v85 dst_sel:DWORD dst_unused:UNUSED_PAD src0_sel:WORD_1
	v_add_nc_u32_e32 v13, s16, v15
	v_cvt_f16_f32_e32 v8, v8
	s_and_b32 s1, s1, s0
	v_max_f32_e32 v46, 0, v46
	v_add_f32_e32 v15, v35, v7
	v_pack_b32_f16 v7, v9, v10
	v_add_f32_e32 v9, v34, v12
	v_pack_b32_f16 v8, v8, v11
	v_cvt_f16_f32_e32 v11, v65
	v_cvt_f16_f32_e32 v12, v60
	v_cvt_f32_f16_sdwa v34, v56 dst_sel:DWORD dst_unused:UNUSED_PAD src0_sel:WORD_1
	v_max_f32_e32 v9, 0, v9
	v_cvt_f32_f16_e32 v35, v56
	v_cndmask_b32_e64 v14, 0x80000000, 0, s1
	v_max_f32_e32 v10, 0, v15
	v_cmp_gt_i32_e64 s1, s11, v81
	v_cvt_f16_f32_e32 v36, v9
	v_pack_b32_f16 v9, v11, v12
	v_add_f32_e32 v11, v28, v34
	v_add_f32_e32 v12, v27, v35
	v_lshl_add_u32 v14, v13, 1, v14
	v_add_nc_u32_e32 v15, s16, v13
	v_cvt_f16_f32_e32 v10, v10
	v_max_f32_e32 v11, 0, v11
	v_max_f32_e32 v12, 0, v12
	v_cvt_f16_f32_e32 v34, v53
	v_cvt_f16_f32_e32 v35, v66
	s_and_b32 s3, s1, s0
	s_and_b32 s1, s1, vcc_lo
	v_pack_b32_f16 v10, v36, v10
	v_cndmask_b32_e64 v27, 0x80000000, 0, s3
	v_subrev_nc_u32_e32 v28, s2, v15
	v_cvt_f16_f32_e32 v36, v11
	v_cvt_f16_f32_e32 v12, v12
	v_cndmask_b32_e64 v37, 0x80000000, 0, s1
	v_pack_b32_f16 v11, v34, v35
	v_cvt_f32_f16_sdwa v34, v72 dst_sel:DWORD dst_unused:UNUSED_PAD src0_sel:WORD_1
	buffer_store_dwordx2 v[7:8], v14, s[24:27], 0 offen
	v_cvt_f32_f16_e32 v7, v72
	v_lshl_add_u32 v27, v15, 1, v27
	v_pack_b32_f16 v12, v12, v36
	v_lshl_add_u32 v35, v28, 1, v37
	v_add_f32_e32 v8, v32, v34
	v_add_f32_e32 v7, v31, v7
	v_cmp_gt_i32_e64 s1, s11, v86
	buffer_store_dwordx2 v[9:10], v27, s[24:27], 0 offen
	buffer_store_dwordx2 v[11:12], v35, s[24:27], 0 offen
	v_max_f32_e32 v8, 0, v8
	v_max_f32_e32 v7, 0, v7
	v_cvt_f32_f16_sdwa v12, v67 dst_sel:DWORD dst_unused:UNUSED_PAD src0_sel:WORD_1
	v_cvt_f32_f16_e32 v14, v67
	s_lshl_b32 s3, s16, 6
	s_and_b32 s4, s1, vcc_lo
	v_add_nc_u32_e32 v9, s3, v28
	v_cvt_f16_f32_e32 v10, v90
	v_cvt_f16_f32_e32 v11, v48
	;; [unrolled: 1-line block ×4, first 2 shown]
	v_cndmask_b32_e64 v28, 0x80000000, 0, s4
	v_add_f32_e32 v12, v24, v12
	v_add_f32_e32 v14, v33, v14
	v_pack_b32_f16 v7, v10, v11
	v_pack_b32_f16 v8, v27, v8
	v_lshl_add_u32 v24, v9, 1, v28
	v_max_f32_e32 v9, 0, v12
	v_max_f32_e32 v10, 0, v14
	v_cvt_f16_f32_e32 v12, v49
	v_cvt_f16_f32_e32 v14, v46
	v_cvt_f32_f16_sdwa v27, v88 dst_sel:DWORD dst_unused:UNUSED_PAD src0_sel:WORD_1
	v_cvt_f32_f16_e32 v28, v88
	s_and_b32 s1, s1, s0
	v_max_f32_e32 v51, 0, v51
	v_add_nc_u32_e32 v11, s3, v15
	v_cvt_f16_f32_e32 v15, v9
	v_cvt_f16_f32_e32 v10, v10
	v_cndmask_b32_e64 v31, 0x80000000, 0, s1
	v_pack_b32_f16 v9, v12, v14
	v_add_f32_e32 v12, v30, v27
	v_add_f32_e32 v14, v29, v28
	v_cmp_ge_i32_e64 s1, s11, v86
	v_pack_b32_f16 v10, v10, v15
	v_lshl_add_u32 v15, v11, 1, v31
	v_max_f32_e32 v11, 0, v12
	v_max_f32_e32 v12, 0, v14
	v_cvt_f16_f32_e32 v14, v93
	v_cvt_f16_f32_e32 v27, v51
	s_and_b32 s1, s1, s0
	v_cvt_f16_f32_e32 v28, v11
	v_add_nc_u32_e32 v13, s3, v13
	v_cvt_f16_f32_e32 v12, v12
	v_pack_b32_f16 v11, v14, v27
	v_cvt_f32_f16_sdwa v14, v74 dst_sel:DWORD dst_unused:UNUSED_PAD src0_sel:WORD_1
	v_cndmask_b32_e64 v29, 0x80000000, 0, s1
	v_max_f32_e32 v50, 0, v50
	buffer_store_dwordx2 v[7:8], v24, s[24:27], 0 offen
	v_pack_b32_f16 v12, v12, v28
	v_add_f32_e32 v7, v26, v14
	v_lshl_add_u32 v28, v13, 1, v29
	v_cmp_gt_i32_e64 s1, s11, v75
	buffer_store_dwordx2 v[9:10], v15, s[24:27], 0 offen
	buffer_store_dwordx2 v[11:12], v28, s[24:27], 0 offen
	v_subrev_nc_u32_e32 v9, s2, v13
	v_max_f32_e32 v7, 0, v7
	v_cvt_f16_f32_e32 v10, v92
	v_cvt_f16_f32_e32 v11, v50
	v_cvt_f32_f16_e32 v13, v61
	v_cvt_f32_f16_sdwa v14, v61 dst_sel:DWORD dst_unused:UNUSED_PAD src0_sel:WORD_1
	s_and_b32 s1, s1, vcc_lo
	v_cvt_f32_f16_e32 v27, v74
	v_cvt_f16_f32_e32 v12, v7
	v_cndmask_b32_e64 v15, 0x80000000, 0, s1
	v_pack_b32_f16 v7, v10, v11
	v_add_f32_e32 v10, v21, v14
	v_add_f32_e32 v11, v20, v13
	;; [unrolled: 1-line block ×3, first 2 shown]
	v_lshl_add_u32 v13, v9, 1, v15
	v_cvt_f32_f16_e32 v14, v78
	v_max_f32_e32 v10, 0, v10
	v_max_f32_e32 v11, 0, v11
	v_cvt_f32_f16_sdwa v15, v78 dst_sel:DWORD dst_unused:UNUSED_PAD src0_sel:WORD_1
	v_max_f32_e32 v8, 0, v8
	v_add_f32_e32 v14, v22, v14
	v_cvt_f16_f32_e32 v10, v10
	v_cvt_f16_f32_e32 v11, v11
	v_add_f32_e32 v15, v23, v15
	v_cmp_ge_i32_e64 s1, s11, v75
	v_max_f32_e32 v54, 0, v54
	v_cvt_f16_f32_e32 v8, v8
	v_pack_b32_f16 v10, v11, v10
	v_max_f32_e32 v11, 0, v14
	v_max_f32_e32 v14, 0, v15
	s_and_b32 s1, s1, vcc_lo
	v_max_f32_e32 v57, 0, v57
	v_pack_b32_f16 v8, v8, v12
	v_subrev_nc_u32_e32 v12, s16, v9
	v_cvt_f16_f32_e32 v9, v87
	v_cvt_f16_f32_e32 v20, v54
	v_cndmask_b32_e64 v15, 0x80000000, 0, s1
	v_cvt_f16_f32_e32 v14, v14
	v_cvt_f16_f32_e32 v22, v11
	v_max_f32_e32 v6, 0, v6
	v_pack_b32_f16 v9, v9, v20
	v_cvt_f16_f32_e32 v20, v57
	v_cvt_f16_f32_e32 v21, v91
	v_lshl_add_u32 v15, v12, 1, v15
	v_add_nc_u32_e32 v23, s2, v12
	v_pack_b32_f16 v12, v22, v14
	v_cvt_f32_f16_e32 v14, v5
	v_cvt_f32_f16_sdwa v5, v5 dst_sel:DWORD dst_unused:UNUSED_PAD src0_sel:WORD_1
	v_cmp_gt_i32_e64 s1, s11, v4
	v_pack_b32_f16 v11, v20, v21
	v_cvt_f16_f32_e32 v6, v6
	v_cvt_f16_f32_e32 v21, v89
	v_add_f32_e32 v19, v19, v5
	v_add_f32_e32 v14, v18, v14
	s_and_b32 s1, s1, s0
	v_max_f32_e32 v1, 0, v1
	v_pack_b32_f16 v5, v6, v21
	v_max_f32_e32 v6, 0, v19
	v_max_f32_e32 v14, 0, v14
	v_cvt_f32_f16_sdwa v19, v3 dst_sel:DWORD dst_unused:UNUSED_PAD src0_sel:WORD_1
	v_cvt_f32_f16_e32 v3, v3
	v_cndmask_b32_e64 v20, 0x80000000, 0, s1
	v_cmp_ge_i32_e64 s1, s11, v4
	v_cvt_f16_f32_e32 v4, v6
	v_cvt_f16_f32_e32 v6, v14
	v_add_f32_e32 v14, v17, v19
	v_add_f32_e32 v3, v16, v3
	s_and_b32 s0, s1, s0
	v_max_f32_e32 v2, 0, v2
	v_cndmask_b32_e64 v16, 0x80000000, 0, s0
	v_cmp_gt_i32_e64 s0, s11, v0
	v_lshl_add_u32 v18, v23, 1, v20
	v_subrev_nc_u32_e32 v20, s16, v23
	v_max_f32_e32 v14, 0, v14
	v_max_f32_e32 v3, 0, v3
	s_and_b32 s0, s0, vcc_lo
	v_cvt_f16_f32_e32 v0, v1
	v_subrev_nc_u32_e32 v17, s2, v20
	v_cvt_f16_f32_e32 v1, v2
	v_cvt_f16_f32_e32 v2, v14
	;; [unrolled: 1-line block ×3, first 2 shown]
	v_cndmask_b32_e64 v14, 0x80000000, 0, s0
	v_pack_b32_f16 v6, v6, v4
	v_lshl_add_u32 v4, v20, 1, v16
	v_pack_b32_f16 v0, v0, v1
	v_pack_b32_f16 v1, v3, v2
	v_lshl_add_u32 v2, v17, 1, v14
	buffer_store_dwordx2 v[7:8], v13, s[24:27], 0 offen
	buffer_store_dwordx2 v[9:10], v15, s[24:27], 0 offen
	buffer_store_dwordx2 v[11:12], v18, s[24:27], 0 offen
	buffer_store_dwordx2 v[5:6], v4, s[24:27], 0 offen
	buffer_store_dwordx2 v[0:1], v2, s[24:27], 0 offen
	s_endpgm
	.section	.rodata,"a",@progbits
	.p2align	6, 0x0
	.amdhsa_kernel _ZN2ck16tensor_operation6device12_GLOBAL__N_137kernel_grouped_conv_fwd_dl_multiple_dINS_32GridwiseGemmDlMultipleD_km_kn_mnILi256EDF16_fNS_5TupleIJDF16_EEEDF16_NS0_12element_wise11PassThroughES8_NS7_7AddReluELNS_25InMemoryDataOperationEnumE0ENS_16TensorDescriptorINS5_IJNS_5EmbedINS5_IJiiiiiEEESD_Lb0EEENS_11PassThroughIiEENS_3PadIiiiLb0EEESI_SI_SG_SG_NSC_INS5_IJiiEEESJ_Lb0EEESK_SK_SG_NS_23Merge_v2_magic_divisionINS5_IJiiiiEEEEESN_NS_8RightPadIiiLb0EEESP_NS_7UnMergeISJ_Lb0EEESG_EEENS5_IJNS_8SequenceIJLi0EEEENST_IJLi1EEEENST_IJLi2EEEENST_IJLi3EEEENST_IJLi4EEEENST_IJLi5EEEENST_IJLi6EEEENST_IJLi7EEEENST_IJLi8EEEENST_IJLi9EEEENST_IJLi10EEEENST_IJLi11ELi13ELi15ELi17EEEENST_IJLi12ELi14ELi16ELi18EEEENST_IJLi19EEEENST_IJLi20EEEENST_IJLi22EEEENST_IJLi21EEEEEEENS5_IJNST_IJLi1ELi2ELi3ELi4ELi5EEEES10_S11_S12_S13_S14_NST_IJLi11EEEENST_IJLi12ELi13EEEENST_IJLi14ELi15EEEENST_IJLi16ELi17EEEENST_IJLi18EEEES17_S18_S1A_S19_NST_IJLi23ELi24EEEENST_IJLi25EEEEEEENST_IJLi23ELi25ELi24EEEElEENSB_INS5_IJSR_SP_SP_SR_SG_EEENS5_IJSU_SV_SW_SY_SX_EEENS5_IJNST_IJLi1ELi2EEEESX_SY_NST_IJLi5ELi6EEEES11_EEENST_IJLi5ELi7ELi6EEEElEENSB_INS5_IJSK_SP_SP_EEENS5_IJSU_SV_SW_EEENS5_IJS1P_SX_SY_EEENST_IJLi3ELi4EEEElEELi128ELi128ELi16ELi2ELi4ELi4ELi1ENST_IJLi8ELi2EEEES1Z_NST_IJLi8ELi1ELi1ELi2EEEENST_IJLi2ELi1ELi128ELi1EEEENST_IJLi1ELi2ELi0ELi3EEEES22_NST_IJLi4ELi1ELi1ELi2EEEES22_NST_IJLi1ELi1ELi1ELi2EEEES20_S21_S22_S22_S23_S22_S24_NST_IJLi0ELi1ELi2ELi3ELi4ELi5EEEELi5ELi4EEEDF16_NS5_IJPKDF16_EEEDF16_S8_S8_S9_NSB_INS5_IJSE_SG_SI_SI_SI_SG_SG_SK_SK_SK_SG_SN_SN_SP_SP_SR_SG_SG_NSQ_INS5_IJiNS_17integral_constantIiLi128EEEEEELb0EEENSF_INS2A_IiLi2EEEEEEEENS5_IJSU_SV_SW_SX_SY_SZ_S10_S11_S12_S13_S14_S15_S16_S17_S18_S19_S1A_NST_IJLi23EEEES1J_NST_IJLi24EEEEEEENS5_IJS1C_S10_S11_S12_S13_S14_S1D_S1E_S1F_S1G_S1H_S17_S18_S1A_S19_S1I_S1J_NST_IJLi26EEEENST_IJLi27ELi28EEEENST_IJLi29EEEEEEENST_IJLi26ELi27ELi28ELi29EEEElEENSB_INS5_IJSR_SP_SP_SR_SG_SG_S2D_S2F_EEENS5_IJSU_SV_SW_SY_SX_SZ_S11_S10_EEENS5_IJS1P_SX_SY_S1Q_S11_S12_NST_IJLi9ELi10EEEES1D_EEENST_IJLi8ELi9ELi10ELi11EEEElEENS5_IJNSB_INS5_IJSK_SP_SP_NSQ_INS5_IJiS2E_NS2A_IiLi64EEEEEELb0EEES2Y_EEENS5_IJSU_SV_SW_SX_SY_EEENS5_IJS1P_SX_SY_NST_IJLi5ELi6ELi7EEEENST_IJLi8ELi9ELi10EEEEEEENST_IJLi5ELi6ELi7ELi8ELi9ELi10EEEElEEEEES35_NS_31BlockToCTileMap_M00_N00_M01_N01ILi128ELi128ES1Y_Lb0EEENS1_30ComputePtrOffsetOfStridedBatchILi1ELi1ELi1EvEELb0ELb1EEEvPKT0_S3D_T1_PT2_T3_T4_T5_iT6_T7_T8_T9_T10_T11_
		.amdhsa_group_segment_fixed_size 32768
		.amdhsa_private_segment_fixed_size 0
		.amdhsa_kernarg_size 1024
		.amdhsa_user_sgpr_count 6
		.amdhsa_user_sgpr_private_segment_buffer 1
		.amdhsa_user_sgpr_dispatch_ptr 0
		.amdhsa_user_sgpr_queue_ptr 0
		.amdhsa_user_sgpr_kernarg_segment_ptr 1
		.amdhsa_user_sgpr_dispatch_id 0
		.amdhsa_user_sgpr_flat_scratch_init 0
		.amdhsa_user_sgpr_private_segment_size 0
		.amdhsa_wavefront_size32 1
		.amdhsa_uses_dynamic_stack 0
		.amdhsa_system_sgpr_private_segment_wavefront_offset 0
		.amdhsa_system_sgpr_workgroup_id_x 1
		.amdhsa_system_sgpr_workgroup_id_y 0
		.amdhsa_system_sgpr_workgroup_id_z 0
		.amdhsa_system_sgpr_workgroup_info 0
		.amdhsa_system_vgpr_workitem_id 0
		.amdhsa_next_free_vgpr 121
		.amdhsa_next_free_sgpr 74
		.amdhsa_reserve_vcc 1
		.amdhsa_reserve_flat_scratch 0
		.amdhsa_float_round_mode_32 0
		.amdhsa_float_round_mode_16_64 0
		.amdhsa_float_denorm_mode_32 3
		.amdhsa_float_denorm_mode_16_64 3
		.amdhsa_dx10_clamp 1
		.amdhsa_ieee_mode 1
		.amdhsa_fp16_overflow 0
		.amdhsa_workgroup_processor_mode 1
		.amdhsa_memory_ordered 1
		.amdhsa_forward_progress 1
		.amdhsa_shared_vgpr_count 0
		.amdhsa_exception_fp_ieee_invalid_op 0
		.amdhsa_exception_fp_denorm_src 0
		.amdhsa_exception_fp_ieee_div_zero 0
		.amdhsa_exception_fp_ieee_overflow 0
		.amdhsa_exception_fp_ieee_underflow 0
		.amdhsa_exception_fp_ieee_inexact 0
		.amdhsa_exception_int_div_zero 0
	.end_amdhsa_kernel
	.section	.text._ZN2ck16tensor_operation6device12_GLOBAL__N_137kernel_grouped_conv_fwd_dl_multiple_dINS_32GridwiseGemmDlMultipleD_km_kn_mnILi256EDF16_fNS_5TupleIJDF16_EEEDF16_NS0_12element_wise11PassThroughES8_NS7_7AddReluELNS_25InMemoryDataOperationEnumE0ENS_16TensorDescriptorINS5_IJNS_5EmbedINS5_IJiiiiiEEESD_Lb0EEENS_11PassThroughIiEENS_3PadIiiiLb0EEESI_SI_SG_SG_NSC_INS5_IJiiEEESJ_Lb0EEESK_SK_SG_NS_23Merge_v2_magic_divisionINS5_IJiiiiEEEEESN_NS_8RightPadIiiLb0EEESP_NS_7UnMergeISJ_Lb0EEESG_EEENS5_IJNS_8SequenceIJLi0EEEENST_IJLi1EEEENST_IJLi2EEEENST_IJLi3EEEENST_IJLi4EEEENST_IJLi5EEEENST_IJLi6EEEENST_IJLi7EEEENST_IJLi8EEEENST_IJLi9EEEENST_IJLi10EEEENST_IJLi11ELi13ELi15ELi17EEEENST_IJLi12ELi14ELi16ELi18EEEENST_IJLi19EEEENST_IJLi20EEEENST_IJLi22EEEENST_IJLi21EEEEEEENS5_IJNST_IJLi1ELi2ELi3ELi4ELi5EEEES10_S11_S12_S13_S14_NST_IJLi11EEEENST_IJLi12ELi13EEEENST_IJLi14ELi15EEEENST_IJLi16ELi17EEEENST_IJLi18EEEES17_S18_S1A_S19_NST_IJLi23ELi24EEEENST_IJLi25EEEEEEENST_IJLi23ELi25ELi24EEEElEENSB_INS5_IJSR_SP_SP_SR_SG_EEENS5_IJSU_SV_SW_SY_SX_EEENS5_IJNST_IJLi1ELi2EEEESX_SY_NST_IJLi5ELi6EEEES11_EEENST_IJLi5ELi7ELi6EEEElEENSB_INS5_IJSK_SP_SP_EEENS5_IJSU_SV_SW_EEENS5_IJS1P_SX_SY_EEENST_IJLi3ELi4EEEElEELi128ELi128ELi16ELi2ELi4ELi4ELi1ENST_IJLi8ELi2EEEES1Z_NST_IJLi8ELi1ELi1ELi2EEEENST_IJLi2ELi1ELi128ELi1EEEENST_IJLi1ELi2ELi0ELi3EEEES22_NST_IJLi4ELi1ELi1ELi2EEEES22_NST_IJLi1ELi1ELi1ELi2EEEES20_S21_S22_S22_S23_S22_S24_NST_IJLi0ELi1ELi2ELi3ELi4ELi5EEEELi5ELi4EEEDF16_NS5_IJPKDF16_EEEDF16_S8_S8_S9_NSB_INS5_IJSE_SG_SI_SI_SI_SG_SG_SK_SK_SK_SG_SN_SN_SP_SP_SR_SG_SG_NSQ_INS5_IJiNS_17integral_constantIiLi128EEEEEELb0EEENSF_INS2A_IiLi2EEEEEEEENS5_IJSU_SV_SW_SX_SY_SZ_S10_S11_S12_S13_S14_S15_S16_S17_S18_S19_S1A_NST_IJLi23EEEES1J_NST_IJLi24EEEEEEENS5_IJS1C_S10_S11_S12_S13_S14_S1D_S1E_S1F_S1G_S1H_S17_S18_S1A_S19_S1I_S1J_NST_IJLi26EEEENST_IJLi27ELi28EEEENST_IJLi29EEEEEEENST_IJLi26ELi27ELi28ELi29EEEElEENSB_INS5_IJSR_SP_SP_SR_SG_SG_S2D_S2F_EEENS5_IJSU_SV_SW_SY_SX_SZ_S11_S10_EEENS5_IJS1P_SX_SY_S1Q_S11_S12_NST_IJLi9ELi10EEEES1D_EEENST_IJLi8ELi9ELi10ELi11EEEElEENS5_IJNSB_INS5_IJSK_SP_SP_NSQ_INS5_IJiS2E_NS2A_IiLi64EEEEEELb0EEES2Y_EEENS5_IJSU_SV_SW_SX_SY_EEENS5_IJS1P_SX_SY_NST_IJLi5ELi6ELi7EEEENST_IJLi8ELi9ELi10EEEEEEENST_IJLi5ELi6ELi7ELi8ELi9ELi10EEEElEEEEES35_NS_31BlockToCTileMap_M00_N00_M01_N01ILi128ELi128ES1Y_Lb0EEENS1_30ComputePtrOffsetOfStridedBatchILi1ELi1ELi1EvEELb0ELb1EEEvPKT0_S3D_T1_PT2_T3_T4_T5_iT6_T7_T8_T9_T10_T11_,"axG",@progbits,_ZN2ck16tensor_operation6device12_GLOBAL__N_137kernel_grouped_conv_fwd_dl_multiple_dINS_32GridwiseGemmDlMultipleD_km_kn_mnILi256EDF16_fNS_5TupleIJDF16_EEEDF16_NS0_12element_wise11PassThroughES8_NS7_7AddReluELNS_25InMemoryDataOperationEnumE0ENS_16TensorDescriptorINS5_IJNS_5EmbedINS5_IJiiiiiEEESD_Lb0EEENS_11PassThroughIiEENS_3PadIiiiLb0EEESI_SI_SG_SG_NSC_INS5_IJiiEEESJ_Lb0EEESK_SK_SG_NS_23Merge_v2_magic_divisionINS5_IJiiiiEEEEESN_NS_8RightPadIiiLb0EEESP_NS_7UnMergeISJ_Lb0EEESG_EEENS5_IJNS_8SequenceIJLi0EEEENST_IJLi1EEEENST_IJLi2EEEENST_IJLi3EEEENST_IJLi4EEEENST_IJLi5EEEENST_IJLi6EEEENST_IJLi7EEEENST_IJLi8EEEENST_IJLi9EEEENST_IJLi10EEEENST_IJLi11ELi13ELi15ELi17EEEENST_IJLi12ELi14ELi16ELi18EEEENST_IJLi19EEEENST_IJLi20EEEENST_IJLi22EEEENST_IJLi21EEEEEEENS5_IJNST_IJLi1ELi2ELi3ELi4ELi5EEEES10_S11_S12_S13_S14_NST_IJLi11EEEENST_IJLi12ELi13EEEENST_IJLi14ELi15EEEENST_IJLi16ELi17EEEENST_IJLi18EEEES17_S18_S1A_S19_NST_IJLi23ELi24EEEENST_IJLi25EEEEEEENST_IJLi23ELi25ELi24EEEElEENSB_INS5_IJSR_SP_SP_SR_SG_EEENS5_IJSU_SV_SW_SY_SX_EEENS5_IJNST_IJLi1ELi2EEEESX_SY_NST_IJLi5ELi6EEEES11_EEENST_IJLi5ELi7ELi6EEEElEENSB_INS5_IJSK_SP_SP_EEENS5_IJSU_SV_SW_EEENS5_IJS1P_SX_SY_EEENST_IJLi3ELi4EEEElEELi128ELi128ELi16ELi2ELi4ELi4ELi1ENST_IJLi8ELi2EEEES1Z_NST_IJLi8ELi1ELi1ELi2EEEENST_IJLi2ELi1ELi128ELi1EEEENST_IJLi1ELi2ELi0ELi3EEEES22_NST_IJLi4ELi1ELi1ELi2EEEES22_NST_IJLi1ELi1ELi1ELi2EEEES20_S21_S22_S22_S23_S22_S24_NST_IJLi0ELi1ELi2ELi3ELi4ELi5EEEELi5ELi4EEEDF16_NS5_IJPKDF16_EEEDF16_S8_S8_S9_NSB_INS5_IJSE_SG_SI_SI_SI_SG_SG_SK_SK_SK_SG_SN_SN_SP_SP_SR_SG_SG_NSQ_INS5_IJiNS_17integral_constantIiLi128EEEEEELb0EEENSF_INS2A_IiLi2EEEEEEEENS5_IJSU_SV_SW_SX_SY_SZ_S10_S11_S12_S13_S14_S15_S16_S17_S18_S19_S1A_NST_IJLi23EEEES1J_NST_IJLi24EEEEEEENS5_IJS1C_S10_S11_S12_S13_S14_S1D_S1E_S1F_S1G_S1H_S17_S18_S1A_S19_S1I_S1J_NST_IJLi26EEEENST_IJLi27ELi28EEEENST_IJLi29EEEEEEENST_IJLi26ELi27ELi28ELi29EEEElEENSB_INS5_IJSR_SP_SP_SR_SG_SG_S2D_S2F_EEENS5_IJSU_SV_SW_SY_SX_SZ_S11_S10_EEENS5_IJS1P_SX_SY_S1Q_S11_S12_NST_IJLi9ELi10EEEES1D_EEENST_IJLi8ELi9ELi10ELi11EEEElEENS5_IJNSB_INS5_IJSK_SP_SP_NSQ_INS5_IJiS2E_NS2A_IiLi64EEEEEELb0EEES2Y_EEENS5_IJSU_SV_SW_SX_SY_EEENS5_IJS1P_SX_SY_NST_IJLi5ELi6ELi7EEEENST_IJLi8ELi9ELi10EEEEEEENST_IJLi5ELi6ELi7ELi8ELi9ELi10EEEElEEEEES35_NS_31BlockToCTileMap_M00_N00_M01_N01ILi128ELi128ES1Y_Lb0EEENS1_30ComputePtrOffsetOfStridedBatchILi1ELi1ELi1EvEELb0ELb1EEEvPKT0_S3D_T1_PT2_T3_T4_T5_iT6_T7_T8_T9_T10_T11_,comdat
.Lfunc_end11:
	.size	_ZN2ck16tensor_operation6device12_GLOBAL__N_137kernel_grouped_conv_fwd_dl_multiple_dINS_32GridwiseGemmDlMultipleD_km_kn_mnILi256EDF16_fNS_5TupleIJDF16_EEEDF16_NS0_12element_wise11PassThroughES8_NS7_7AddReluELNS_25InMemoryDataOperationEnumE0ENS_16TensorDescriptorINS5_IJNS_5EmbedINS5_IJiiiiiEEESD_Lb0EEENS_11PassThroughIiEENS_3PadIiiiLb0EEESI_SI_SG_SG_NSC_INS5_IJiiEEESJ_Lb0EEESK_SK_SG_NS_23Merge_v2_magic_divisionINS5_IJiiiiEEEEESN_NS_8RightPadIiiLb0EEESP_NS_7UnMergeISJ_Lb0EEESG_EEENS5_IJNS_8SequenceIJLi0EEEENST_IJLi1EEEENST_IJLi2EEEENST_IJLi3EEEENST_IJLi4EEEENST_IJLi5EEEENST_IJLi6EEEENST_IJLi7EEEENST_IJLi8EEEENST_IJLi9EEEENST_IJLi10EEEENST_IJLi11ELi13ELi15ELi17EEEENST_IJLi12ELi14ELi16ELi18EEEENST_IJLi19EEEENST_IJLi20EEEENST_IJLi22EEEENST_IJLi21EEEEEEENS5_IJNST_IJLi1ELi2ELi3ELi4ELi5EEEES10_S11_S12_S13_S14_NST_IJLi11EEEENST_IJLi12ELi13EEEENST_IJLi14ELi15EEEENST_IJLi16ELi17EEEENST_IJLi18EEEES17_S18_S1A_S19_NST_IJLi23ELi24EEEENST_IJLi25EEEEEEENST_IJLi23ELi25ELi24EEEElEENSB_INS5_IJSR_SP_SP_SR_SG_EEENS5_IJSU_SV_SW_SY_SX_EEENS5_IJNST_IJLi1ELi2EEEESX_SY_NST_IJLi5ELi6EEEES11_EEENST_IJLi5ELi7ELi6EEEElEENSB_INS5_IJSK_SP_SP_EEENS5_IJSU_SV_SW_EEENS5_IJS1P_SX_SY_EEENST_IJLi3ELi4EEEElEELi128ELi128ELi16ELi2ELi4ELi4ELi1ENST_IJLi8ELi2EEEES1Z_NST_IJLi8ELi1ELi1ELi2EEEENST_IJLi2ELi1ELi128ELi1EEEENST_IJLi1ELi2ELi0ELi3EEEES22_NST_IJLi4ELi1ELi1ELi2EEEES22_NST_IJLi1ELi1ELi1ELi2EEEES20_S21_S22_S22_S23_S22_S24_NST_IJLi0ELi1ELi2ELi3ELi4ELi5EEEELi5ELi4EEEDF16_NS5_IJPKDF16_EEEDF16_S8_S8_S9_NSB_INS5_IJSE_SG_SI_SI_SI_SG_SG_SK_SK_SK_SG_SN_SN_SP_SP_SR_SG_SG_NSQ_INS5_IJiNS_17integral_constantIiLi128EEEEEELb0EEENSF_INS2A_IiLi2EEEEEEEENS5_IJSU_SV_SW_SX_SY_SZ_S10_S11_S12_S13_S14_S15_S16_S17_S18_S19_S1A_NST_IJLi23EEEES1J_NST_IJLi24EEEEEEENS5_IJS1C_S10_S11_S12_S13_S14_S1D_S1E_S1F_S1G_S1H_S17_S18_S1A_S19_S1I_S1J_NST_IJLi26EEEENST_IJLi27ELi28EEEENST_IJLi29EEEEEEENST_IJLi26ELi27ELi28ELi29EEEElEENSB_INS5_IJSR_SP_SP_SR_SG_SG_S2D_S2F_EEENS5_IJSU_SV_SW_SY_SX_SZ_S11_S10_EEENS5_IJS1P_SX_SY_S1Q_S11_S12_NST_IJLi9ELi10EEEES1D_EEENST_IJLi8ELi9ELi10ELi11EEEElEENS5_IJNSB_INS5_IJSK_SP_SP_NSQ_INS5_IJiS2E_NS2A_IiLi64EEEEEELb0EEES2Y_EEENS5_IJSU_SV_SW_SX_SY_EEENS5_IJS1P_SX_SY_NST_IJLi5ELi6ELi7EEEENST_IJLi8ELi9ELi10EEEEEEENST_IJLi5ELi6ELi7ELi8ELi9ELi10EEEElEEEEES35_NS_31BlockToCTileMap_M00_N00_M01_N01ILi128ELi128ES1Y_Lb0EEENS1_30ComputePtrOffsetOfStridedBatchILi1ELi1ELi1EvEELb0ELb1EEEvPKT0_S3D_T1_PT2_T3_T4_T5_iT6_T7_T8_T9_T10_T11_, .Lfunc_end11-_ZN2ck16tensor_operation6device12_GLOBAL__N_137kernel_grouped_conv_fwd_dl_multiple_dINS_32GridwiseGemmDlMultipleD_km_kn_mnILi256EDF16_fNS_5TupleIJDF16_EEEDF16_NS0_12element_wise11PassThroughES8_NS7_7AddReluELNS_25InMemoryDataOperationEnumE0ENS_16TensorDescriptorINS5_IJNS_5EmbedINS5_IJiiiiiEEESD_Lb0EEENS_11PassThroughIiEENS_3PadIiiiLb0EEESI_SI_SG_SG_NSC_INS5_IJiiEEESJ_Lb0EEESK_SK_SG_NS_23Merge_v2_magic_divisionINS5_IJiiiiEEEEESN_NS_8RightPadIiiLb0EEESP_NS_7UnMergeISJ_Lb0EEESG_EEENS5_IJNS_8SequenceIJLi0EEEENST_IJLi1EEEENST_IJLi2EEEENST_IJLi3EEEENST_IJLi4EEEENST_IJLi5EEEENST_IJLi6EEEENST_IJLi7EEEENST_IJLi8EEEENST_IJLi9EEEENST_IJLi10EEEENST_IJLi11ELi13ELi15ELi17EEEENST_IJLi12ELi14ELi16ELi18EEEENST_IJLi19EEEENST_IJLi20EEEENST_IJLi22EEEENST_IJLi21EEEEEEENS5_IJNST_IJLi1ELi2ELi3ELi4ELi5EEEES10_S11_S12_S13_S14_NST_IJLi11EEEENST_IJLi12ELi13EEEENST_IJLi14ELi15EEEENST_IJLi16ELi17EEEENST_IJLi18EEEES17_S18_S1A_S19_NST_IJLi23ELi24EEEENST_IJLi25EEEEEEENST_IJLi23ELi25ELi24EEEElEENSB_INS5_IJSR_SP_SP_SR_SG_EEENS5_IJSU_SV_SW_SY_SX_EEENS5_IJNST_IJLi1ELi2EEEESX_SY_NST_IJLi5ELi6EEEES11_EEENST_IJLi5ELi7ELi6EEEElEENSB_INS5_IJSK_SP_SP_EEENS5_IJSU_SV_SW_EEENS5_IJS1P_SX_SY_EEENST_IJLi3ELi4EEEElEELi128ELi128ELi16ELi2ELi4ELi4ELi1ENST_IJLi8ELi2EEEES1Z_NST_IJLi8ELi1ELi1ELi2EEEENST_IJLi2ELi1ELi128ELi1EEEENST_IJLi1ELi2ELi0ELi3EEEES22_NST_IJLi4ELi1ELi1ELi2EEEES22_NST_IJLi1ELi1ELi1ELi2EEEES20_S21_S22_S22_S23_S22_S24_NST_IJLi0ELi1ELi2ELi3ELi4ELi5EEEELi5ELi4EEEDF16_NS5_IJPKDF16_EEEDF16_S8_S8_S9_NSB_INS5_IJSE_SG_SI_SI_SI_SG_SG_SK_SK_SK_SG_SN_SN_SP_SP_SR_SG_SG_NSQ_INS5_IJiNS_17integral_constantIiLi128EEEEEELb0EEENSF_INS2A_IiLi2EEEEEEEENS5_IJSU_SV_SW_SX_SY_SZ_S10_S11_S12_S13_S14_S15_S16_S17_S18_S19_S1A_NST_IJLi23EEEES1J_NST_IJLi24EEEEEEENS5_IJS1C_S10_S11_S12_S13_S14_S1D_S1E_S1F_S1G_S1H_S17_S18_S1A_S19_S1I_S1J_NST_IJLi26EEEENST_IJLi27ELi28EEEENST_IJLi29EEEEEEENST_IJLi26ELi27ELi28ELi29EEEElEENSB_INS5_IJSR_SP_SP_SR_SG_SG_S2D_S2F_EEENS5_IJSU_SV_SW_SY_SX_SZ_S11_S10_EEENS5_IJS1P_SX_SY_S1Q_S11_S12_NST_IJLi9ELi10EEEES1D_EEENST_IJLi8ELi9ELi10ELi11EEEElEENS5_IJNSB_INS5_IJSK_SP_SP_NSQ_INS5_IJiS2E_NS2A_IiLi64EEEEEELb0EEES2Y_EEENS5_IJSU_SV_SW_SX_SY_EEENS5_IJS1P_SX_SY_NST_IJLi5ELi6ELi7EEEENST_IJLi8ELi9ELi10EEEEEEENST_IJLi5ELi6ELi7ELi8ELi9ELi10EEEElEEEEES35_NS_31BlockToCTileMap_M00_N00_M01_N01ILi128ELi128ES1Y_Lb0EEENS1_30ComputePtrOffsetOfStridedBatchILi1ELi1ELi1EvEELb0ELb1EEEvPKT0_S3D_T1_PT2_T3_T4_T5_iT6_T7_T8_T9_T10_T11_
                                        ; -- End function
	.set _ZN2ck16tensor_operation6device12_GLOBAL__N_137kernel_grouped_conv_fwd_dl_multiple_dINS_32GridwiseGemmDlMultipleD_km_kn_mnILi256EDF16_fNS_5TupleIJDF16_EEEDF16_NS0_12element_wise11PassThroughES8_NS7_7AddReluELNS_25InMemoryDataOperationEnumE0ENS_16TensorDescriptorINS5_IJNS_5EmbedINS5_IJiiiiiEEESD_Lb0EEENS_11PassThroughIiEENS_3PadIiiiLb0EEESI_SI_SG_SG_NSC_INS5_IJiiEEESJ_Lb0EEESK_SK_SG_NS_23Merge_v2_magic_divisionINS5_IJiiiiEEEEESN_NS_8RightPadIiiLb0EEESP_NS_7UnMergeISJ_Lb0EEESG_EEENS5_IJNS_8SequenceIJLi0EEEENST_IJLi1EEEENST_IJLi2EEEENST_IJLi3EEEENST_IJLi4EEEENST_IJLi5EEEENST_IJLi6EEEENST_IJLi7EEEENST_IJLi8EEEENST_IJLi9EEEENST_IJLi10EEEENST_IJLi11ELi13ELi15ELi17EEEENST_IJLi12ELi14ELi16ELi18EEEENST_IJLi19EEEENST_IJLi20EEEENST_IJLi22EEEENST_IJLi21EEEEEEENS5_IJNST_IJLi1ELi2ELi3ELi4ELi5EEEES10_S11_S12_S13_S14_NST_IJLi11EEEENST_IJLi12ELi13EEEENST_IJLi14ELi15EEEENST_IJLi16ELi17EEEENST_IJLi18EEEES17_S18_S1A_S19_NST_IJLi23ELi24EEEENST_IJLi25EEEEEEENST_IJLi23ELi25ELi24EEEElEENSB_INS5_IJSR_SP_SP_SR_SG_EEENS5_IJSU_SV_SW_SY_SX_EEENS5_IJNST_IJLi1ELi2EEEESX_SY_NST_IJLi5ELi6EEEES11_EEENST_IJLi5ELi7ELi6EEEElEENSB_INS5_IJSK_SP_SP_EEENS5_IJSU_SV_SW_EEENS5_IJS1P_SX_SY_EEENST_IJLi3ELi4EEEElEELi128ELi128ELi16ELi2ELi4ELi4ELi1ENST_IJLi8ELi2EEEES1Z_NST_IJLi8ELi1ELi1ELi2EEEENST_IJLi2ELi1ELi128ELi1EEEENST_IJLi1ELi2ELi0ELi3EEEES22_NST_IJLi4ELi1ELi1ELi2EEEES22_NST_IJLi1ELi1ELi1ELi2EEEES20_S21_S22_S22_S23_S22_S24_NST_IJLi0ELi1ELi2ELi3ELi4ELi5EEEELi5ELi4EEEDF16_NS5_IJPKDF16_EEEDF16_S8_S8_S9_NSB_INS5_IJSE_SG_SI_SI_SI_SG_SG_SK_SK_SK_SG_SN_SN_SP_SP_SR_SG_SG_NSQ_INS5_IJiNS_17integral_constantIiLi128EEEEEELb0EEENSF_INS2A_IiLi2EEEEEEEENS5_IJSU_SV_SW_SX_SY_SZ_S10_S11_S12_S13_S14_S15_S16_S17_S18_S19_S1A_NST_IJLi23EEEES1J_NST_IJLi24EEEEEEENS5_IJS1C_S10_S11_S12_S13_S14_S1D_S1E_S1F_S1G_S1H_S17_S18_S1A_S19_S1I_S1J_NST_IJLi26EEEENST_IJLi27ELi28EEEENST_IJLi29EEEEEEENST_IJLi26ELi27ELi28ELi29EEEElEENSB_INS5_IJSR_SP_SP_SR_SG_SG_S2D_S2F_EEENS5_IJSU_SV_SW_SY_SX_SZ_S11_S10_EEENS5_IJS1P_SX_SY_S1Q_S11_S12_NST_IJLi9ELi10EEEES1D_EEENST_IJLi8ELi9ELi10ELi11EEEElEENS5_IJNSB_INS5_IJSK_SP_SP_NSQ_INS5_IJiS2E_NS2A_IiLi64EEEEEELb0EEES2Y_EEENS5_IJSU_SV_SW_SX_SY_EEENS5_IJS1P_SX_SY_NST_IJLi5ELi6ELi7EEEENST_IJLi8ELi9ELi10EEEEEEENST_IJLi5ELi6ELi7ELi8ELi9ELi10EEEElEEEEES35_NS_31BlockToCTileMap_M00_N00_M01_N01ILi128ELi128ES1Y_Lb0EEENS1_30ComputePtrOffsetOfStridedBatchILi1ELi1ELi1EvEELb0ELb1EEEvPKT0_S3D_T1_PT2_T3_T4_T5_iT6_T7_T8_T9_T10_T11_.num_vgpr, 121
	.set _ZN2ck16tensor_operation6device12_GLOBAL__N_137kernel_grouped_conv_fwd_dl_multiple_dINS_32GridwiseGemmDlMultipleD_km_kn_mnILi256EDF16_fNS_5TupleIJDF16_EEEDF16_NS0_12element_wise11PassThroughES8_NS7_7AddReluELNS_25InMemoryDataOperationEnumE0ENS_16TensorDescriptorINS5_IJNS_5EmbedINS5_IJiiiiiEEESD_Lb0EEENS_11PassThroughIiEENS_3PadIiiiLb0EEESI_SI_SG_SG_NSC_INS5_IJiiEEESJ_Lb0EEESK_SK_SG_NS_23Merge_v2_magic_divisionINS5_IJiiiiEEEEESN_NS_8RightPadIiiLb0EEESP_NS_7UnMergeISJ_Lb0EEESG_EEENS5_IJNS_8SequenceIJLi0EEEENST_IJLi1EEEENST_IJLi2EEEENST_IJLi3EEEENST_IJLi4EEEENST_IJLi5EEEENST_IJLi6EEEENST_IJLi7EEEENST_IJLi8EEEENST_IJLi9EEEENST_IJLi10EEEENST_IJLi11ELi13ELi15ELi17EEEENST_IJLi12ELi14ELi16ELi18EEEENST_IJLi19EEEENST_IJLi20EEEENST_IJLi22EEEENST_IJLi21EEEEEEENS5_IJNST_IJLi1ELi2ELi3ELi4ELi5EEEES10_S11_S12_S13_S14_NST_IJLi11EEEENST_IJLi12ELi13EEEENST_IJLi14ELi15EEEENST_IJLi16ELi17EEEENST_IJLi18EEEES17_S18_S1A_S19_NST_IJLi23ELi24EEEENST_IJLi25EEEEEEENST_IJLi23ELi25ELi24EEEElEENSB_INS5_IJSR_SP_SP_SR_SG_EEENS5_IJSU_SV_SW_SY_SX_EEENS5_IJNST_IJLi1ELi2EEEESX_SY_NST_IJLi5ELi6EEEES11_EEENST_IJLi5ELi7ELi6EEEElEENSB_INS5_IJSK_SP_SP_EEENS5_IJSU_SV_SW_EEENS5_IJS1P_SX_SY_EEENST_IJLi3ELi4EEEElEELi128ELi128ELi16ELi2ELi4ELi4ELi1ENST_IJLi8ELi2EEEES1Z_NST_IJLi8ELi1ELi1ELi2EEEENST_IJLi2ELi1ELi128ELi1EEEENST_IJLi1ELi2ELi0ELi3EEEES22_NST_IJLi4ELi1ELi1ELi2EEEES22_NST_IJLi1ELi1ELi1ELi2EEEES20_S21_S22_S22_S23_S22_S24_NST_IJLi0ELi1ELi2ELi3ELi4ELi5EEEELi5ELi4EEEDF16_NS5_IJPKDF16_EEEDF16_S8_S8_S9_NSB_INS5_IJSE_SG_SI_SI_SI_SG_SG_SK_SK_SK_SG_SN_SN_SP_SP_SR_SG_SG_NSQ_INS5_IJiNS_17integral_constantIiLi128EEEEEELb0EEENSF_INS2A_IiLi2EEEEEEEENS5_IJSU_SV_SW_SX_SY_SZ_S10_S11_S12_S13_S14_S15_S16_S17_S18_S19_S1A_NST_IJLi23EEEES1J_NST_IJLi24EEEEEEENS5_IJS1C_S10_S11_S12_S13_S14_S1D_S1E_S1F_S1G_S1H_S17_S18_S1A_S19_S1I_S1J_NST_IJLi26EEEENST_IJLi27ELi28EEEENST_IJLi29EEEEEEENST_IJLi26ELi27ELi28ELi29EEEElEENSB_INS5_IJSR_SP_SP_SR_SG_SG_S2D_S2F_EEENS5_IJSU_SV_SW_SY_SX_SZ_S11_S10_EEENS5_IJS1P_SX_SY_S1Q_S11_S12_NST_IJLi9ELi10EEEES1D_EEENST_IJLi8ELi9ELi10ELi11EEEElEENS5_IJNSB_INS5_IJSK_SP_SP_NSQ_INS5_IJiS2E_NS2A_IiLi64EEEEEELb0EEES2Y_EEENS5_IJSU_SV_SW_SX_SY_EEENS5_IJS1P_SX_SY_NST_IJLi5ELi6ELi7EEEENST_IJLi8ELi9ELi10EEEEEEENST_IJLi5ELi6ELi7ELi8ELi9ELi10EEEElEEEEES35_NS_31BlockToCTileMap_M00_N00_M01_N01ILi128ELi128ES1Y_Lb0EEENS1_30ComputePtrOffsetOfStridedBatchILi1ELi1ELi1EvEELb0ELb1EEEvPKT0_S3D_T1_PT2_T3_T4_T5_iT6_T7_T8_T9_T10_T11_.num_agpr, 0
	.set _ZN2ck16tensor_operation6device12_GLOBAL__N_137kernel_grouped_conv_fwd_dl_multiple_dINS_32GridwiseGemmDlMultipleD_km_kn_mnILi256EDF16_fNS_5TupleIJDF16_EEEDF16_NS0_12element_wise11PassThroughES8_NS7_7AddReluELNS_25InMemoryDataOperationEnumE0ENS_16TensorDescriptorINS5_IJNS_5EmbedINS5_IJiiiiiEEESD_Lb0EEENS_11PassThroughIiEENS_3PadIiiiLb0EEESI_SI_SG_SG_NSC_INS5_IJiiEEESJ_Lb0EEESK_SK_SG_NS_23Merge_v2_magic_divisionINS5_IJiiiiEEEEESN_NS_8RightPadIiiLb0EEESP_NS_7UnMergeISJ_Lb0EEESG_EEENS5_IJNS_8SequenceIJLi0EEEENST_IJLi1EEEENST_IJLi2EEEENST_IJLi3EEEENST_IJLi4EEEENST_IJLi5EEEENST_IJLi6EEEENST_IJLi7EEEENST_IJLi8EEEENST_IJLi9EEEENST_IJLi10EEEENST_IJLi11ELi13ELi15ELi17EEEENST_IJLi12ELi14ELi16ELi18EEEENST_IJLi19EEEENST_IJLi20EEEENST_IJLi22EEEENST_IJLi21EEEEEEENS5_IJNST_IJLi1ELi2ELi3ELi4ELi5EEEES10_S11_S12_S13_S14_NST_IJLi11EEEENST_IJLi12ELi13EEEENST_IJLi14ELi15EEEENST_IJLi16ELi17EEEENST_IJLi18EEEES17_S18_S1A_S19_NST_IJLi23ELi24EEEENST_IJLi25EEEEEEENST_IJLi23ELi25ELi24EEEElEENSB_INS5_IJSR_SP_SP_SR_SG_EEENS5_IJSU_SV_SW_SY_SX_EEENS5_IJNST_IJLi1ELi2EEEESX_SY_NST_IJLi5ELi6EEEES11_EEENST_IJLi5ELi7ELi6EEEElEENSB_INS5_IJSK_SP_SP_EEENS5_IJSU_SV_SW_EEENS5_IJS1P_SX_SY_EEENST_IJLi3ELi4EEEElEELi128ELi128ELi16ELi2ELi4ELi4ELi1ENST_IJLi8ELi2EEEES1Z_NST_IJLi8ELi1ELi1ELi2EEEENST_IJLi2ELi1ELi128ELi1EEEENST_IJLi1ELi2ELi0ELi3EEEES22_NST_IJLi4ELi1ELi1ELi2EEEES22_NST_IJLi1ELi1ELi1ELi2EEEES20_S21_S22_S22_S23_S22_S24_NST_IJLi0ELi1ELi2ELi3ELi4ELi5EEEELi5ELi4EEEDF16_NS5_IJPKDF16_EEEDF16_S8_S8_S9_NSB_INS5_IJSE_SG_SI_SI_SI_SG_SG_SK_SK_SK_SG_SN_SN_SP_SP_SR_SG_SG_NSQ_INS5_IJiNS_17integral_constantIiLi128EEEEEELb0EEENSF_INS2A_IiLi2EEEEEEEENS5_IJSU_SV_SW_SX_SY_SZ_S10_S11_S12_S13_S14_S15_S16_S17_S18_S19_S1A_NST_IJLi23EEEES1J_NST_IJLi24EEEEEEENS5_IJS1C_S10_S11_S12_S13_S14_S1D_S1E_S1F_S1G_S1H_S17_S18_S1A_S19_S1I_S1J_NST_IJLi26EEEENST_IJLi27ELi28EEEENST_IJLi29EEEEEEENST_IJLi26ELi27ELi28ELi29EEEElEENSB_INS5_IJSR_SP_SP_SR_SG_SG_S2D_S2F_EEENS5_IJSU_SV_SW_SY_SX_SZ_S11_S10_EEENS5_IJS1P_SX_SY_S1Q_S11_S12_NST_IJLi9ELi10EEEES1D_EEENST_IJLi8ELi9ELi10ELi11EEEElEENS5_IJNSB_INS5_IJSK_SP_SP_NSQ_INS5_IJiS2E_NS2A_IiLi64EEEEEELb0EEES2Y_EEENS5_IJSU_SV_SW_SX_SY_EEENS5_IJS1P_SX_SY_NST_IJLi5ELi6ELi7EEEENST_IJLi8ELi9ELi10EEEEEEENST_IJLi5ELi6ELi7ELi8ELi9ELi10EEEElEEEEES35_NS_31BlockToCTileMap_M00_N00_M01_N01ILi128ELi128ES1Y_Lb0EEENS1_30ComputePtrOffsetOfStridedBatchILi1ELi1ELi1EvEELb0ELb1EEEvPKT0_S3D_T1_PT2_T3_T4_T5_iT6_T7_T8_T9_T10_T11_.numbered_sgpr, 74
	.set _ZN2ck16tensor_operation6device12_GLOBAL__N_137kernel_grouped_conv_fwd_dl_multiple_dINS_32GridwiseGemmDlMultipleD_km_kn_mnILi256EDF16_fNS_5TupleIJDF16_EEEDF16_NS0_12element_wise11PassThroughES8_NS7_7AddReluELNS_25InMemoryDataOperationEnumE0ENS_16TensorDescriptorINS5_IJNS_5EmbedINS5_IJiiiiiEEESD_Lb0EEENS_11PassThroughIiEENS_3PadIiiiLb0EEESI_SI_SG_SG_NSC_INS5_IJiiEEESJ_Lb0EEESK_SK_SG_NS_23Merge_v2_magic_divisionINS5_IJiiiiEEEEESN_NS_8RightPadIiiLb0EEESP_NS_7UnMergeISJ_Lb0EEESG_EEENS5_IJNS_8SequenceIJLi0EEEENST_IJLi1EEEENST_IJLi2EEEENST_IJLi3EEEENST_IJLi4EEEENST_IJLi5EEEENST_IJLi6EEEENST_IJLi7EEEENST_IJLi8EEEENST_IJLi9EEEENST_IJLi10EEEENST_IJLi11ELi13ELi15ELi17EEEENST_IJLi12ELi14ELi16ELi18EEEENST_IJLi19EEEENST_IJLi20EEEENST_IJLi22EEEENST_IJLi21EEEEEEENS5_IJNST_IJLi1ELi2ELi3ELi4ELi5EEEES10_S11_S12_S13_S14_NST_IJLi11EEEENST_IJLi12ELi13EEEENST_IJLi14ELi15EEEENST_IJLi16ELi17EEEENST_IJLi18EEEES17_S18_S1A_S19_NST_IJLi23ELi24EEEENST_IJLi25EEEEEEENST_IJLi23ELi25ELi24EEEElEENSB_INS5_IJSR_SP_SP_SR_SG_EEENS5_IJSU_SV_SW_SY_SX_EEENS5_IJNST_IJLi1ELi2EEEESX_SY_NST_IJLi5ELi6EEEES11_EEENST_IJLi5ELi7ELi6EEEElEENSB_INS5_IJSK_SP_SP_EEENS5_IJSU_SV_SW_EEENS5_IJS1P_SX_SY_EEENST_IJLi3ELi4EEEElEELi128ELi128ELi16ELi2ELi4ELi4ELi1ENST_IJLi8ELi2EEEES1Z_NST_IJLi8ELi1ELi1ELi2EEEENST_IJLi2ELi1ELi128ELi1EEEENST_IJLi1ELi2ELi0ELi3EEEES22_NST_IJLi4ELi1ELi1ELi2EEEES22_NST_IJLi1ELi1ELi1ELi2EEEES20_S21_S22_S22_S23_S22_S24_NST_IJLi0ELi1ELi2ELi3ELi4ELi5EEEELi5ELi4EEEDF16_NS5_IJPKDF16_EEEDF16_S8_S8_S9_NSB_INS5_IJSE_SG_SI_SI_SI_SG_SG_SK_SK_SK_SG_SN_SN_SP_SP_SR_SG_SG_NSQ_INS5_IJiNS_17integral_constantIiLi128EEEEEELb0EEENSF_INS2A_IiLi2EEEEEEEENS5_IJSU_SV_SW_SX_SY_SZ_S10_S11_S12_S13_S14_S15_S16_S17_S18_S19_S1A_NST_IJLi23EEEES1J_NST_IJLi24EEEEEEENS5_IJS1C_S10_S11_S12_S13_S14_S1D_S1E_S1F_S1G_S1H_S17_S18_S1A_S19_S1I_S1J_NST_IJLi26EEEENST_IJLi27ELi28EEEENST_IJLi29EEEEEEENST_IJLi26ELi27ELi28ELi29EEEElEENSB_INS5_IJSR_SP_SP_SR_SG_SG_S2D_S2F_EEENS5_IJSU_SV_SW_SY_SX_SZ_S11_S10_EEENS5_IJS1P_SX_SY_S1Q_S11_S12_NST_IJLi9ELi10EEEES1D_EEENST_IJLi8ELi9ELi10ELi11EEEElEENS5_IJNSB_INS5_IJSK_SP_SP_NSQ_INS5_IJiS2E_NS2A_IiLi64EEEEEELb0EEES2Y_EEENS5_IJSU_SV_SW_SX_SY_EEENS5_IJS1P_SX_SY_NST_IJLi5ELi6ELi7EEEENST_IJLi8ELi9ELi10EEEEEEENST_IJLi5ELi6ELi7ELi8ELi9ELi10EEEElEEEEES35_NS_31BlockToCTileMap_M00_N00_M01_N01ILi128ELi128ES1Y_Lb0EEENS1_30ComputePtrOffsetOfStridedBatchILi1ELi1ELi1EvEELb0ELb1EEEvPKT0_S3D_T1_PT2_T3_T4_T5_iT6_T7_T8_T9_T10_T11_.num_named_barrier, 0
	.set _ZN2ck16tensor_operation6device12_GLOBAL__N_137kernel_grouped_conv_fwd_dl_multiple_dINS_32GridwiseGemmDlMultipleD_km_kn_mnILi256EDF16_fNS_5TupleIJDF16_EEEDF16_NS0_12element_wise11PassThroughES8_NS7_7AddReluELNS_25InMemoryDataOperationEnumE0ENS_16TensorDescriptorINS5_IJNS_5EmbedINS5_IJiiiiiEEESD_Lb0EEENS_11PassThroughIiEENS_3PadIiiiLb0EEESI_SI_SG_SG_NSC_INS5_IJiiEEESJ_Lb0EEESK_SK_SG_NS_23Merge_v2_magic_divisionINS5_IJiiiiEEEEESN_NS_8RightPadIiiLb0EEESP_NS_7UnMergeISJ_Lb0EEESG_EEENS5_IJNS_8SequenceIJLi0EEEENST_IJLi1EEEENST_IJLi2EEEENST_IJLi3EEEENST_IJLi4EEEENST_IJLi5EEEENST_IJLi6EEEENST_IJLi7EEEENST_IJLi8EEEENST_IJLi9EEEENST_IJLi10EEEENST_IJLi11ELi13ELi15ELi17EEEENST_IJLi12ELi14ELi16ELi18EEEENST_IJLi19EEEENST_IJLi20EEEENST_IJLi22EEEENST_IJLi21EEEEEEENS5_IJNST_IJLi1ELi2ELi3ELi4ELi5EEEES10_S11_S12_S13_S14_NST_IJLi11EEEENST_IJLi12ELi13EEEENST_IJLi14ELi15EEEENST_IJLi16ELi17EEEENST_IJLi18EEEES17_S18_S1A_S19_NST_IJLi23ELi24EEEENST_IJLi25EEEEEEENST_IJLi23ELi25ELi24EEEElEENSB_INS5_IJSR_SP_SP_SR_SG_EEENS5_IJSU_SV_SW_SY_SX_EEENS5_IJNST_IJLi1ELi2EEEESX_SY_NST_IJLi5ELi6EEEES11_EEENST_IJLi5ELi7ELi6EEEElEENSB_INS5_IJSK_SP_SP_EEENS5_IJSU_SV_SW_EEENS5_IJS1P_SX_SY_EEENST_IJLi3ELi4EEEElEELi128ELi128ELi16ELi2ELi4ELi4ELi1ENST_IJLi8ELi2EEEES1Z_NST_IJLi8ELi1ELi1ELi2EEEENST_IJLi2ELi1ELi128ELi1EEEENST_IJLi1ELi2ELi0ELi3EEEES22_NST_IJLi4ELi1ELi1ELi2EEEES22_NST_IJLi1ELi1ELi1ELi2EEEES20_S21_S22_S22_S23_S22_S24_NST_IJLi0ELi1ELi2ELi3ELi4ELi5EEEELi5ELi4EEEDF16_NS5_IJPKDF16_EEEDF16_S8_S8_S9_NSB_INS5_IJSE_SG_SI_SI_SI_SG_SG_SK_SK_SK_SG_SN_SN_SP_SP_SR_SG_SG_NSQ_INS5_IJiNS_17integral_constantIiLi128EEEEEELb0EEENSF_INS2A_IiLi2EEEEEEEENS5_IJSU_SV_SW_SX_SY_SZ_S10_S11_S12_S13_S14_S15_S16_S17_S18_S19_S1A_NST_IJLi23EEEES1J_NST_IJLi24EEEEEEENS5_IJS1C_S10_S11_S12_S13_S14_S1D_S1E_S1F_S1G_S1H_S17_S18_S1A_S19_S1I_S1J_NST_IJLi26EEEENST_IJLi27ELi28EEEENST_IJLi29EEEEEEENST_IJLi26ELi27ELi28ELi29EEEElEENSB_INS5_IJSR_SP_SP_SR_SG_SG_S2D_S2F_EEENS5_IJSU_SV_SW_SY_SX_SZ_S11_S10_EEENS5_IJS1P_SX_SY_S1Q_S11_S12_NST_IJLi9ELi10EEEES1D_EEENST_IJLi8ELi9ELi10ELi11EEEElEENS5_IJNSB_INS5_IJSK_SP_SP_NSQ_INS5_IJiS2E_NS2A_IiLi64EEEEEELb0EEES2Y_EEENS5_IJSU_SV_SW_SX_SY_EEENS5_IJS1P_SX_SY_NST_IJLi5ELi6ELi7EEEENST_IJLi8ELi9ELi10EEEEEEENST_IJLi5ELi6ELi7ELi8ELi9ELi10EEEElEEEEES35_NS_31BlockToCTileMap_M00_N00_M01_N01ILi128ELi128ES1Y_Lb0EEENS1_30ComputePtrOffsetOfStridedBatchILi1ELi1ELi1EvEELb0ELb1EEEvPKT0_S3D_T1_PT2_T3_T4_T5_iT6_T7_T8_T9_T10_T11_.private_seg_size, 0
	.set _ZN2ck16tensor_operation6device12_GLOBAL__N_137kernel_grouped_conv_fwd_dl_multiple_dINS_32GridwiseGemmDlMultipleD_km_kn_mnILi256EDF16_fNS_5TupleIJDF16_EEEDF16_NS0_12element_wise11PassThroughES8_NS7_7AddReluELNS_25InMemoryDataOperationEnumE0ENS_16TensorDescriptorINS5_IJNS_5EmbedINS5_IJiiiiiEEESD_Lb0EEENS_11PassThroughIiEENS_3PadIiiiLb0EEESI_SI_SG_SG_NSC_INS5_IJiiEEESJ_Lb0EEESK_SK_SG_NS_23Merge_v2_magic_divisionINS5_IJiiiiEEEEESN_NS_8RightPadIiiLb0EEESP_NS_7UnMergeISJ_Lb0EEESG_EEENS5_IJNS_8SequenceIJLi0EEEENST_IJLi1EEEENST_IJLi2EEEENST_IJLi3EEEENST_IJLi4EEEENST_IJLi5EEEENST_IJLi6EEEENST_IJLi7EEEENST_IJLi8EEEENST_IJLi9EEEENST_IJLi10EEEENST_IJLi11ELi13ELi15ELi17EEEENST_IJLi12ELi14ELi16ELi18EEEENST_IJLi19EEEENST_IJLi20EEEENST_IJLi22EEEENST_IJLi21EEEEEEENS5_IJNST_IJLi1ELi2ELi3ELi4ELi5EEEES10_S11_S12_S13_S14_NST_IJLi11EEEENST_IJLi12ELi13EEEENST_IJLi14ELi15EEEENST_IJLi16ELi17EEEENST_IJLi18EEEES17_S18_S1A_S19_NST_IJLi23ELi24EEEENST_IJLi25EEEEEEENST_IJLi23ELi25ELi24EEEElEENSB_INS5_IJSR_SP_SP_SR_SG_EEENS5_IJSU_SV_SW_SY_SX_EEENS5_IJNST_IJLi1ELi2EEEESX_SY_NST_IJLi5ELi6EEEES11_EEENST_IJLi5ELi7ELi6EEEElEENSB_INS5_IJSK_SP_SP_EEENS5_IJSU_SV_SW_EEENS5_IJS1P_SX_SY_EEENST_IJLi3ELi4EEEElEELi128ELi128ELi16ELi2ELi4ELi4ELi1ENST_IJLi8ELi2EEEES1Z_NST_IJLi8ELi1ELi1ELi2EEEENST_IJLi2ELi1ELi128ELi1EEEENST_IJLi1ELi2ELi0ELi3EEEES22_NST_IJLi4ELi1ELi1ELi2EEEES22_NST_IJLi1ELi1ELi1ELi2EEEES20_S21_S22_S22_S23_S22_S24_NST_IJLi0ELi1ELi2ELi3ELi4ELi5EEEELi5ELi4EEEDF16_NS5_IJPKDF16_EEEDF16_S8_S8_S9_NSB_INS5_IJSE_SG_SI_SI_SI_SG_SG_SK_SK_SK_SG_SN_SN_SP_SP_SR_SG_SG_NSQ_INS5_IJiNS_17integral_constantIiLi128EEEEEELb0EEENSF_INS2A_IiLi2EEEEEEEENS5_IJSU_SV_SW_SX_SY_SZ_S10_S11_S12_S13_S14_S15_S16_S17_S18_S19_S1A_NST_IJLi23EEEES1J_NST_IJLi24EEEEEEENS5_IJS1C_S10_S11_S12_S13_S14_S1D_S1E_S1F_S1G_S1H_S17_S18_S1A_S19_S1I_S1J_NST_IJLi26EEEENST_IJLi27ELi28EEEENST_IJLi29EEEEEEENST_IJLi26ELi27ELi28ELi29EEEElEENSB_INS5_IJSR_SP_SP_SR_SG_SG_S2D_S2F_EEENS5_IJSU_SV_SW_SY_SX_SZ_S11_S10_EEENS5_IJS1P_SX_SY_S1Q_S11_S12_NST_IJLi9ELi10EEEES1D_EEENST_IJLi8ELi9ELi10ELi11EEEElEENS5_IJNSB_INS5_IJSK_SP_SP_NSQ_INS5_IJiS2E_NS2A_IiLi64EEEEEELb0EEES2Y_EEENS5_IJSU_SV_SW_SX_SY_EEENS5_IJS1P_SX_SY_NST_IJLi5ELi6ELi7EEEENST_IJLi8ELi9ELi10EEEEEEENST_IJLi5ELi6ELi7ELi8ELi9ELi10EEEElEEEEES35_NS_31BlockToCTileMap_M00_N00_M01_N01ILi128ELi128ES1Y_Lb0EEENS1_30ComputePtrOffsetOfStridedBatchILi1ELi1ELi1EvEELb0ELb1EEEvPKT0_S3D_T1_PT2_T3_T4_T5_iT6_T7_T8_T9_T10_T11_.uses_vcc, 1
	.set _ZN2ck16tensor_operation6device12_GLOBAL__N_137kernel_grouped_conv_fwd_dl_multiple_dINS_32GridwiseGemmDlMultipleD_km_kn_mnILi256EDF16_fNS_5TupleIJDF16_EEEDF16_NS0_12element_wise11PassThroughES8_NS7_7AddReluELNS_25InMemoryDataOperationEnumE0ENS_16TensorDescriptorINS5_IJNS_5EmbedINS5_IJiiiiiEEESD_Lb0EEENS_11PassThroughIiEENS_3PadIiiiLb0EEESI_SI_SG_SG_NSC_INS5_IJiiEEESJ_Lb0EEESK_SK_SG_NS_23Merge_v2_magic_divisionINS5_IJiiiiEEEEESN_NS_8RightPadIiiLb0EEESP_NS_7UnMergeISJ_Lb0EEESG_EEENS5_IJNS_8SequenceIJLi0EEEENST_IJLi1EEEENST_IJLi2EEEENST_IJLi3EEEENST_IJLi4EEEENST_IJLi5EEEENST_IJLi6EEEENST_IJLi7EEEENST_IJLi8EEEENST_IJLi9EEEENST_IJLi10EEEENST_IJLi11ELi13ELi15ELi17EEEENST_IJLi12ELi14ELi16ELi18EEEENST_IJLi19EEEENST_IJLi20EEEENST_IJLi22EEEENST_IJLi21EEEEEEENS5_IJNST_IJLi1ELi2ELi3ELi4ELi5EEEES10_S11_S12_S13_S14_NST_IJLi11EEEENST_IJLi12ELi13EEEENST_IJLi14ELi15EEEENST_IJLi16ELi17EEEENST_IJLi18EEEES17_S18_S1A_S19_NST_IJLi23ELi24EEEENST_IJLi25EEEEEEENST_IJLi23ELi25ELi24EEEElEENSB_INS5_IJSR_SP_SP_SR_SG_EEENS5_IJSU_SV_SW_SY_SX_EEENS5_IJNST_IJLi1ELi2EEEESX_SY_NST_IJLi5ELi6EEEES11_EEENST_IJLi5ELi7ELi6EEEElEENSB_INS5_IJSK_SP_SP_EEENS5_IJSU_SV_SW_EEENS5_IJS1P_SX_SY_EEENST_IJLi3ELi4EEEElEELi128ELi128ELi16ELi2ELi4ELi4ELi1ENST_IJLi8ELi2EEEES1Z_NST_IJLi8ELi1ELi1ELi2EEEENST_IJLi2ELi1ELi128ELi1EEEENST_IJLi1ELi2ELi0ELi3EEEES22_NST_IJLi4ELi1ELi1ELi2EEEES22_NST_IJLi1ELi1ELi1ELi2EEEES20_S21_S22_S22_S23_S22_S24_NST_IJLi0ELi1ELi2ELi3ELi4ELi5EEEELi5ELi4EEEDF16_NS5_IJPKDF16_EEEDF16_S8_S8_S9_NSB_INS5_IJSE_SG_SI_SI_SI_SG_SG_SK_SK_SK_SG_SN_SN_SP_SP_SR_SG_SG_NSQ_INS5_IJiNS_17integral_constantIiLi128EEEEEELb0EEENSF_INS2A_IiLi2EEEEEEEENS5_IJSU_SV_SW_SX_SY_SZ_S10_S11_S12_S13_S14_S15_S16_S17_S18_S19_S1A_NST_IJLi23EEEES1J_NST_IJLi24EEEEEEENS5_IJS1C_S10_S11_S12_S13_S14_S1D_S1E_S1F_S1G_S1H_S17_S18_S1A_S19_S1I_S1J_NST_IJLi26EEEENST_IJLi27ELi28EEEENST_IJLi29EEEEEEENST_IJLi26ELi27ELi28ELi29EEEElEENSB_INS5_IJSR_SP_SP_SR_SG_SG_S2D_S2F_EEENS5_IJSU_SV_SW_SY_SX_SZ_S11_S10_EEENS5_IJS1P_SX_SY_S1Q_S11_S12_NST_IJLi9ELi10EEEES1D_EEENST_IJLi8ELi9ELi10ELi11EEEElEENS5_IJNSB_INS5_IJSK_SP_SP_NSQ_INS5_IJiS2E_NS2A_IiLi64EEEEEELb0EEES2Y_EEENS5_IJSU_SV_SW_SX_SY_EEENS5_IJS1P_SX_SY_NST_IJLi5ELi6ELi7EEEENST_IJLi8ELi9ELi10EEEEEEENST_IJLi5ELi6ELi7ELi8ELi9ELi10EEEElEEEEES35_NS_31BlockToCTileMap_M00_N00_M01_N01ILi128ELi128ES1Y_Lb0EEENS1_30ComputePtrOffsetOfStridedBatchILi1ELi1ELi1EvEELb0ELb1EEEvPKT0_S3D_T1_PT2_T3_T4_T5_iT6_T7_T8_T9_T10_T11_.uses_flat_scratch, 0
	.set _ZN2ck16tensor_operation6device12_GLOBAL__N_137kernel_grouped_conv_fwd_dl_multiple_dINS_32GridwiseGemmDlMultipleD_km_kn_mnILi256EDF16_fNS_5TupleIJDF16_EEEDF16_NS0_12element_wise11PassThroughES8_NS7_7AddReluELNS_25InMemoryDataOperationEnumE0ENS_16TensorDescriptorINS5_IJNS_5EmbedINS5_IJiiiiiEEESD_Lb0EEENS_11PassThroughIiEENS_3PadIiiiLb0EEESI_SI_SG_SG_NSC_INS5_IJiiEEESJ_Lb0EEESK_SK_SG_NS_23Merge_v2_magic_divisionINS5_IJiiiiEEEEESN_NS_8RightPadIiiLb0EEESP_NS_7UnMergeISJ_Lb0EEESG_EEENS5_IJNS_8SequenceIJLi0EEEENST_IJLi1EEEENST_IJLi2EEEENST_IJLi3EEEENST_IJLi4EEEENST_IJLi5EEEENST_IJLi6EEEENST_IJLi7EEEENST_IJLi8EEEENST_IJLi9EEEENST_IJLi10EEEENST_IJLi11ELi13ELi15ELi17EEEENST_IJLi12ELi14ELi16ELi18EEEENST_IJLi19EEEENST_IJLi20EEEENST_IJLi22EEEENST_IJLi21EEEEEEENS5_IJNST_IJLi1ELi2ELi3ELi4ELi5EEEES10_S11_S12_S13_S14_NST_IJLi11EEEENST_IJLi12ELi13EEEENST_IJLi14ELi15EEEENST_IJLi16ELi17EEEENST_IJLi18EEEES17_S18_S1A_S19_NST_IJLi23ELi24EEEENST_IJLi25EEEEEEENST_IJLi23ELi25ELi24EEEElEENSB_INS5_IJSR_SP_SP_SR_SG_EEENS5_IJSU_SV_SW_SY_SX_EEENS5_IJNST_IJLi1ELi2EEEESX_SY_NST_IJLi5ELi6EEEES11_EEENST_IJLi5ELi7ELi6EEEElEENSB_INS5_IJSK_SP_SP_EEENS5_IJSU_SV_SW_EEENS5_IJS1P_SX_SY_EEENST_IJLi3ELi4EEEElEELi128ELi128ELi16ELi2ELi4ELi4ELi1ENST_IJLi8ELi2EEEES1Z_NST_IJLi8ELi1ELi1ELi2EEEENST_IJLi2ELi1ELi128ELi1EEEENST_IJLi1ELi2ELi0ELi3EEEES22_NST_IJLi4ELi1ELi1ELi2EEEES22_NST_IJLi1ELi1ELi1ELi2EEEES20_S21_S22_S22_S23_S22_S24_NST_IJLi0ELi1ELi2ELi3ELi4ELi5EEEELi5ELi4EEEDF16_NS5_IJPKDF16_EEEDF16_S8_S8_S9_NSB_INS5_IJSE_SG_SI_SI_SI_SG_SG_SK_SK_SK_SG_SN_SN_SP_SP_SR_SG_SG_NSQ_INS5_IJiNS_17integral_constantIiLi128EEEEEELb0EEENSF_INS2A_IiLi2EEEEEEEENS5_IJSU_SV_SW_SX_SY_SZ_S10_S11_S12_S13_S14_S15_S16_S17_S18_S19_S1A_NST_IJLi23EEEES1J_NST_IJLi24EEEEEEENS5_IJS1C_S10_S11_S12_S13_S14_S1D_S1E_S1F_S1G_S1H_S17_S18_S1A_S19_S1I_S1J_NST_IJLi26EEEENST_IJLi27ELi28EEEENST_IJLi29EEEEEEENST_IJLi26ELi27ELi28ELi29EEEElEENSB_INS5_IJSR_SP_SP_SR_SG_SG_S2D_S2F_EEENS5_IJSU_SV_SW_SY_SX_SZ_S11_S10_EEENS5_IJS1P_SX_SY_S1Q_S11_S12_NST_IJLi9ELi10EEEES1D_EEENST_IJLi8ELi9ELi10ELi11EEEElEENS5_IJNSB_INS5_IJSK_SP_SP_NSQ_INS5_IJiS2E_NS2A_IiLi64EEEEEELb0EEES2Y_EEENS5_IJSU_SV_SW_SX_SY_EEENS5_IJS1P_SX_SY_NST_IJLi5ELi6ELi7EEEENST_IJLi8ELi9ELi10EEEEEEENST_IJLi5ELi6ELi7ELi8ELi9ELi10EEEElEEEEES35_NS_31BlockToCTileMap_M00_N00_M01_N01ILi128ELi128ES1Y_Lb0EEENS1_30ComputePtrOffsetOfStridedBatchILi1ELi1ELi1EvEELb0ELb1EEEvPKT0_S3D_T1_PT2_T3_T4_T5_iT6_T7_T8_T9_T10_T11_.has_dyn_sized_stack, 0
	.set _ZN2ck16tensor_operation6device12_GLOBAL__N_137kernel_grouped_conv_fwd_dl_multiple_dINS_32GridwiseGemmDlMultipleD_km_kn_mnILi256EDF16_fNS_5TupleIJDF16_EEEDF16_NS0_12element_wise11PassThroughES8_NS7_7AddReluELNS_25InMemoryDataOperationEnumE0ENS_16TensorDescriptorINS5_IJNS_5EmbedINS5_IJiiiiiEEESD_Lb0EEENS_11PassThroughIiEENS_3PadIiiiLb0EEESI_SI_SG_SG_NSC_INS5_IJiiEEESJ_Lb0EEESK_SK_SG_NS_23Merge_v2_magic_divisionINS5_IJiiiiEEEEESN_NS_8RightPadIiiLb0EEESP_NS_7UnMergeISJ_Lb0EEESG_EEENS5_IJNS_8SequenceIJLi0EEEENST_IJLi1EEEENST_IJLi2EEEENST_IJLi3EEEENST_IJLi4EEEENST_IJLi5EEEENST_IJLi6EEEENST_IJLi7EEEENST_IJLi8EEEENST_IJLi9EEEENST_IJLi10EEEENST_IJLi11ELi13ELi15ELi17EEEENST_IJLi12ELi14ELi16ELi18EEEENST_IJLi19EEEENST_IJLi20EEEENST_IJLi22EEEENST_IJLi21EEEEEEENS5_IJNST_IJLi1ELi2ELi3ELi4ELi5EEEES10_S11_S12_S13_S14_NST_IJLi11EEEENST_IJLi12ELi13EEEENST_IJLi14ELi15EEEENST_IJLi16ELi17EEEENST_IJLi18EEEES17_S18_S1A_S19_NST_IJLi23ELi24EEEENST_IJLi25EEEEEEENST_IJLi23ELi25ELi24EEEElEENSB_INS5_IJSR_SP_SP_SR_SG_EEENS5_IJSU_SV_SW_SY_SX_EEENS5_IJNST_IJLi1ELi2EEEESX_SY_NST_IJLi5ELi6EEEES11_EEENST_IJLi5ELi7ELi6EEEElEENSB_INS5_IJSK_SP_SP_EEENS5_IJSU_SV_SW_EEENS5_IJS1P_SX_SY_EEENST_IJLi3ELi4EEEElEELi128ELi128ELi16ELi2ELi4ELi4ELi1ENST_IJLi8ELi2EEEES1Z_NST_IJLi8ELi1ELi1ELi2EEEENST_IJLi2ELi1ELi128ELi1EEEENST_IJLi1ELi2ELi0ELi3EEEES22_NST_IJLi4ELi1ELi1ELi2EEEES22_NST_IJLi1ELi1ELi1ELi2EEEES20_S21_S22_S22_S23_S22_S24_NST_IJLi0ELi1ELi2ELi3ELi4ELi5EEEELi5ELi4EEEDF16_NS5_IJPKDF16_EEEDF16_S8_S8_S9_NSB_INS5_IJSE_SG_SI_SI_SI_SG_SG_SK_SK_SK_SG_SN_SN_SP_SP_SR_SG_SG_NSQ_INS5_IJiNS_17integral_constantIiLi128EEEEEELb0EEENSF_INS2A_IiLi2EEEEEEEENS5_IJSU_SV_SW_SX_SY_SZ_S10_S11_S12_S13_S14_S15_S16_S17_S18_S19_S1A_NST_IJLi23EEEES1J_NST_IJLi24EEEEEEENS5_IJS1C_S10_S11_S12_S13_S14_S1D_S1E_S1F_S1G_S1H_S17_S18_S1A_S19_S1I_S1J_NST_IJLi26EEEENST_IJLi27ELi28EEEENST_IJLi29EEEEEEENST_IJLi26ELi27ELi28ELi29EEEElEENSB_INS5_IJSR_SP_SP_SR_SG_SG_S2D_S2F_EEENS5_IJSU_SV_SW_SY_SX_SZ_S11_S10_EEENS5_IJS1P_SX_SY_S1Q_S11_S12_NST_IJLi9ELi10EEEES1D_EEENST_IJLi8ELi9ELi10ELi11EEEElEENS5_IJNSB_INS5_IJSK_SP_SP_NSQ_INS5_IJiS2E_NS2A_IiLi64EEEEEELb0EEES2Y_EEENS5_IJSU_SV_SW_SX_SY_EEENS5_IJS1P_SX_SY_NST_IJLi5ELi6ELi7EEEENST_IJLi8ELi9ELi10EEEEEEENST_IJLi5ELi6ELi7ELi8ELi9ELi10EEEElEEEEES35_NS_31BlockToCTileMap_M00_N00_M01_N01ILi128ELi128ES1Y_Lb0EEENS1_30ComputePtrOffsetOfStridedBatchILi1ELi1ELi1EvEELb0ELb1EEEvPKT0_S3D_T1_PT2_T3_T4_T5_iT6_T7_T8_T9_T10_T11_.has_recursion, 0
	.set _ZN2ck16tensor_operation6device12_GLOBAL__N_137kernel_grouped_conv_fwd_dl_multiple_dINS_32GridwiseGemmDlMultipleD_km_kn_mnILi256EDF16_fNS_5TupleIJDF16_EEEDF16_NS0_12element_wise11PassThroughES8_NS7_7AddReluELNS_25InMemoryDataOperationEnumE0ENS_16TensorDescriptorINS5_IJNS_5EmbedINS5_IJiiiiiEEESD_Lb0EEENS_11PassThroughIiEENS_3PadIiiiLb0EEESI_SI_SG_SG_NSC_INS5_IJiiEEESJ_Lb0EEESK_SK_SG_NS_23Merge_v2_magic_divisionINS5_IJiiiiEEEEESN_NS_8RightPadIiiLb0EEESP_NS_7UnMergeISJ_Lb0EEESG_EEENS5_IJNS_8SequenceIJLi0EEEENST_IJLi1EEEENST_IJLi2EEEENST_IJLi3EEEENST_IJLi4EEEENST_IJLi5EEEENST_IJLi6EEEENST_IJLi7EEEENST_IJLi8EEEENST_IJLi9EEEENST_IJLi10EEEENST_IJLi11ELi13ELi15ELi17EEEENST_IJLi12ELi14ELi16ELi18EEEENST_IJLi19EEEENST_IJLi20EEEENST_IJLi22EEEENST_IJLi21EEEEEEENS5_IJNST_IJLi1ELi2ELi3ELi4ELi5EEEES10_S11_S12_S13_S14_NST_IJLi11EEEENST_IJLi12ELi13EEEENST_IJLi14ELi15EEEENST_IJLi16ELi17EEEENST_IJLi18EEEES17_S18_S1A_S19_NST_IJLi23ELi24EEEENST_IJLi25EEEEEEENST_IJLi23ELi25ELi24EEEElEENSB_INS5_IJSR_SP_SP_SR_SG_EEENS5_IJSU_SV_SW_SY_SX_EEENS5_IJNST_IJLi1ELi2EEEESX_SY_NST_IJLi5ELi6EEEES11_EEENST_IJLi5ELi7ELi6EEEElEENSB_INS5_IJSK_SP_SP_EEENS5_IJSU_SV_SW_EEENS5_IJS1P_SX_SY_EEENST_IJLi3ELi4EEEElEELi128ELi128ELi16ELi2ELi4ELi4ELi1ENST_IJLi8ELi2EEEES1Z_NST_IJLi8ELi1ELi1ELi2EEEENST_IJLi2ELi1ELi128ELi1EEEENST_IJLi1ELi2ELi0ELi3EEEES22_NST_IJLi4ELi1ELi1ELi2EEEES22_NST_IJLi1ELi1ELi1ELi2EEEES20_S21_S22_S22_S23_S22_S24_NST_IJLi0ELi1ELi2ELi3ELi4ELi5EEEELi5ELi4EEEDF16_NS5_IJPKDF16_EEEDF16_S8_S8_S9_NSB_INS5_IJSE_SG_SI_SI_SI_SG_SG_SK_SK_SK_SG_SN_SN_SP_SP_SR_SG_SG_NSQ_INS5_IJiNS_17integral_constantIiLi128EEEEEELb0EEENSF_INS2A_IiLi2EEEEEEEENS5_IJSU_SV_SW_SX_SY_SZ_S10_S11_S12_S13_S14_S15_S16_S17_S18_S19_S1A_NST_IJLi23EEEES1J_NST_IJLi24EEEEEEENS5_IJS1C_S10_S11_S12_S13_S14_S1D_S1E_S1F_S1G_S1H_S17_S18_S1A_S19_S1I_S1J_NST_IJLi26EEEENST_IJLi27ELi28EEEENST_IJLi29EEEEEEENST_IJLi26ELi27ELi28ELi29EEEElEENSB_INS5_IJSR_SP_SP_SR_SG_SG_S2D_S2F_EEENS5_IJSU_SV_SW_SY_SX_SZ_S11_S10_EEENS5_IJS1P_SX_SY_S1Q_S11_S12_NST_IJLi9ELi10EEEES1D_EEENST_IJLi8ELi9ELi10ELi11EEEElEENS5_IJNSB_INS5_IJSK_SP_SP_NSQ_INS5_IJiS2E_NS2A_IiLi64EEEEEELb0EEES2Y_EEENS5_IJSU_SV_SW_SX_SY_EEENS5_IJS1P_SX_SY_NST_IJLi5ELi6ELi7EEEENST_IJLi8ELi9ELi10EEEEEEENST_IJLi5ELi6ELi7ELi8ELi9ELi10EEEElEEEEES35_NS_31BlockToCTileMap_M00_N00_M01_N01ILi128ELi128ES1Y_Lb0EEENS1_30ComputePtrOffsetOfStridedBatchILi1ELi1ELi1EvEELb0ELb1EEEvPKT0_S3D_T1_PT2_T3_T4_T5_iT6_T7_T8_T9_T10_T11_.has_indirect_call, 0
	.section	.AMDGPU.csdata,"",@progbits
; Kernel info:
; codeLenInByte = 15556
; TotalNumSgprs: 76
; NumVgprs: 121
; ScratchSize: 0
; MemoryBound: 0
; FloatMode: 240
; IeeeMode: 1
; LDSByteSize: 32768 bytes/workgroup (compile time only)
; SGPRBlocks: 0
; VGPRBlocks: 15
; NumSGPRsForWavesPerEU: 76
; NumVGPRsForWavesPerEU: 121
; Occupancy: 8
; WaveLimiterHint : 0
; COMPUTE_PGM_RSRC2:SCRATCH_EN: 0
; COMPUTE_PGM_RSRC2:USER_SGPR: 6
; COMPUTE_PGM_RSRC2:TRAP_HANDLER: 0
; COMPUTE_PGM_RSRC2:TGID_X_EN: 1
; COMPUTE_PGM_RSRC2:TGID_Y_EN: 0
; COMPUTE_PGM_RSRC2:TGID_Z_EN: 0
; COMPUTE_PGM_RSRC2:TIDIG_COMP_CNT: 0
	.section	.text._ZN2ck16tensor_operation6device12_GLOBAL__N_137kernel_grouped_conv_fwd_dl_multiple_dINS_32GridwiseGemmDlMultipleD_km_kn_mnILi256EDF16_fNS_5TupleIJDF16_EEEDF16_NS0_12element_wise11PassThroughES8_NS7_7AddReluELNS_25InMemoryDataOperationEnumE0ENS_16TensorDescriptorINS5_IJNS_5EmbedINS5_IJiiiiiEEESD_Lb0EEENS_11PassThroughIiEENS_3PadIiiiLb0EEESI_SI_SG_SG_NSC_INS5_IJiiEEESJ_Lb0EEESK_SK_SG_NS_23Merge_v2_magic_divisionINS5_IJiiiiEEEEESN_NS_8RightPadIiiLb0EEESP_NS_7UnMergeISJ_Lb0EEESG_EEENS5_IJNS_8SequenceIJLi0EEEENST_IJLi1EEEENST_IJLi2EEEENST_IJLi3EEEENST_IJLi4EEEENST_IJLi5EEEENST_IJLi6EEEENST_IJLi7EEEENST_IJLi8EEEENST_IJLi9EEEENST_IJLi10EEEENST_IJLi11ELi13ELi15ELi17EEEENST_IJLi12ELi14ELi16ELi18EEEENST_IJLi19EEEENST_IJLi20EEEENST_IJLi22EEEENST_IJLi21EEEEEEENS5_IJNST_IJLi1ELi2ELi3ELi4ELi5EEEES10_S11_S12_S13_S14_NST_IJLi11EEEENST_IJLi12ELi13EEEENST_IJLi14ELi15EEEENST_IJLi16ELi17EEEENST_IJLi18EEEES17_S18_S1A_S19_NST_IJLi23ELi24EEEENST_IJLi25EEEEEEENST_IJLi23ELi25ELi24EEEElEENSB_INS5_IJSR_SP_SP_SR_SG_EEENS5_IJSU_SV_SW_SY_SX_EEENS5_IJNST_IJLi1ELi2EEEESX_SY_NST_IJLi5ELi6EEEES11_EEENST_IJLi5ELi7ELi6EEEElEENSB_INS5_IJSK_SP_SP_EEENS5_IJSU_SV_SW_EEENS5_IJS1P_SX_SY_EEENST_IJLi3ELi4EEEElEELi128ELi128ELi16ELi2ELi4ELi4ELi1ENST_IJLi8ELi2EEEES1Z_NST_IJLi8ELi1ELi1ELi2EEEENST_IJLi2ELi1ELi128ELi1EEEENST_IJLi1ELi2ELi0ELi3EEEES22_NST_IJLi4ELi1ELi1ELi2EEEES22_NST_IJLi1ELi1ELi1ELi2EEEES20_S21_S22_S22_S23_S22_S24_NST_IJLi0ELi1ELi2ELi3ELi4ELi5EEEELi5ELi4EEEDF16_NS5_IJPKDF16_EEEDF16_S8_S8_S9_NSB_INS5_IJSE_SG_SI_SI_SI_SG_SG_SK_SK_SK_SG_SN_SN_SP_SP_SR_SG_SG_NSQ_INS5_IJiNS_17integral_constantIiLi128EEEEEELb0EEENSF_INS2A_IiLi2EEEEEEEENS5_IJSU_SV_SW_SX_SY_SZ_S10_S11_S12_S13_S14_S15_S16_S17_S18_S19_S1A_NST_IJLi23EEEES1J_NST_IJLi24EEEEEEENS5_IJS1C_S10_S11_S12_S13_S14_S1D_S1E_S1F_S1G_S1H_S17_S18_S1A_S19_S1I_S1J_NST_IJLi26EEEENST_IJLi27ELi28EEEENST_IJLi29EEEEEEENST_IJLi26ELi27ELi28ELi29EEEElEENSB_INS5_IJSR_SP_SP_SR_SG_SG_S2D_S2F_EEENS5_IJSU_SV_SW_SY_SX_SZ_S11_S10_EEENS5_IJS1P_SX_SY_S1Q_S11_S12_NST_IJLi9ELi10EEEES1D_EEENST_IJLi8ELi9ELi10ELi11EEEElEENS5_IJNSB_INS5_IJSK_SP_SP_NSQ_INS5_IJiS2E_NS2A_IiLi64EEEEEELb0EEES2Y_EEENS5_IJSU_SV_SW_SX_SY_EEENS5_IJS1P_SX_SY_NST_IJLi5ELi6ELi7EEEENST_IJLi8ELi9ELi10EEEEEEENST_IJLi5ELi6ELi7ELi8ELi9ELi10EEEElEEEEES35_NS_31BlockToCTileMap_M00_N00_M01_N01ILi128ELi128ES1Y_Lb0EEENS1_30ComputePtrOffsetOfStridedBatchILi1ELi1ELi1EvEELb0ELb0EEEvPKT0_S3D_T1_PT2_T3_T4_T5_iT6_T7_T8_T9_T10_T11_,"axG",@progbits,_ZN2ck16tensor_operation6device12_GLOBAL__N_137kernel_grouped_conv_fwd_dl_multiple_dINS_32GridwiseGemmDlMultipleD_km_kn_mnILi256EDF16_fNS_5TupleIJDF16_EEEDF16_NS0_12element_wise11PassThroughES8_NS7_7AddReluELNS_25InMemoryDataOperationEnumE0ENS_16TensorDescriptorINS5_IJNS_5EmbedINS5_IJiiiiiEEESD_Lb0EEENS_11PassThroughIiEENS_3PadIiiiLb0EEESI_SI_SG_SG_NSC_INS5_IJiiEEESJ_Lb0EEESK_SK_SG_NS_23Merge_v2_magic_divisionINS5_IJiiiiEEEEESN_NS_8RightPadIiiLb0EEESP_NS_7UnMergeISJ_Lb0EEESG_EEENS5_IJNS_8SequenceIJLi0EEEENST_IJLi1EEEENST_IJLi2EEEENST_IJLi3EEEENST_IJLi4EEEENST_IJLi5EEEENST_IJLi6EEEENST_IJLi7EEEENST_IJLi8EEEENST_IJLi9EEEENST_IJLi10EEEENST_IJLi11ELi13ELi15ELi17EEEENST_IJLi12ELi14ELi16ELi18EEEENST_IJLi19EEEENST_IJLi20EEEENST_IJLi22EEEENST_IJLi21EEEEEEENS5_IJNST_IJLi1ELi2ELi3ELi4ELi5EEEES10_S11_S12_S13_S14_NST_IJLi11EEEENST_IJLi12ELi13EEEENST_IJLi14ELi15EEEENST_IJLi16ELi17EEEENST_IJLi18EEEES17_S18_S1A_S19_NST_IJLi23ELi24EEEENST_IJLi25EEEEEEENST_IJLi23ELi25ELi24EEEElEENSB_INS5_IJSR_SP_SP_SR_SG_EEENS5_IJSU_SV_SW_SY_SX_EEENS5_IJNST_IJLi1ELi2EEEESX_SY_NST_IJLi5ELi6EEEES11_EEENST_IJLi5ELi7ELi6EEEElEENSB_INS5_IJSK_SP_SP_EEENS5_IJSU_SV_SW_EEENS5_IJS1P_SX_SY_EEENST_IJLi3ELi4EEEElEELi128ELi128ELi16ELi2ELi4ELi4ELi1ENST_IJLi8ELi2EEEES1Z_NST_IJLi8ELi1ELi1ELi2EEEENST_IJLi2ELi1ELi128ELi1EEEENST_IJLi1ELi2ELi0ELi3EEEES22_NST_IJLi4ELi1ELi1ELi2EEEES22_NST_IJLi1ELi1ELi1ELi2EEEES20_S21_S22_S22_S23_S22_S24_NST_IJLi0ELi1ELi2ELi3ELi4ELi5EEEELi5ELi4EEEDF16_NS5_IJPKDF16_EEEDF16_S8_S8_S9_NSB_INS5_IJSE_SG_SI_SI_SI_SG_SG_SK_SK_SK_SG_SN_SN_SP_SP_SR_SG_SG_NSQ_INS5_IJiNS_17integral_constantIiLi128EEEEEELb0EEENSF_INS2A_IiLi2EEEEEEEENS5_IJSU_SV_SW_SX_SY_SZ_S10_S11_S12_S13_S14_S15_S16_S17_S18_S19_S1A_NST_IJLi23EEEES1J_NST_IJLi24EEEEEEENS5_IJS1C_S10_S11_S12_S13_S14_S1D_S1E_S1F_S1G_S1H_S17_S18_S1A_S19_S1I_S1J_NST_IJLi26EEEENST_IJLi27ELi28EEEENST_IJLi29EEEEEEENST_IJLi26ELi27ELi28ELi29EEEElEENSB_INS5_IJSR_SP_SP_SR_SG_SG_S2D_S2F_EEENS5_IJSU_SV_SW_SY_SX_SZ_S11_S10_EEENS5_IJS1P_SX_SY_S1Q_S11_S12_NST_IJLi9ELi10EEEES1D_EEENST_IJLi8ELi9ELi10ELi11EEEElEENS5_IJNSB_INS5_IJSK_SP_SP_NSQ_INS5_IJiS2E_NS2A_IiLi64EEEEEELb0EEES2Y_EEENS5_IJSU_SV_SW_SX_SY_EEENS5_IJS1P_SX_SY_NST_IJLi5ELi6ELi7EEEENST_IJLi8ELi9ELi10EEEEEEENST_IJLi5ELi6ELi7ELi8ELi9ELi10EEEElEEEEES35_NS_31BlockToCTileMap_M00_N00_M01_N01ILi128ELi128ES1Y_Lb0EEENS1_30ComputePtrOffsetOfStridedBatchILi1ELi1ELi1EvEELb0ELb0EEEvPKT0_S3D_T1_PT2_T3_T4_T5_iT6_T7_T8_T9_T10_T11_,comdat
	.globl	_ZN2ck16tensor_operation6device12_GLOBAL__N_137kernel_grouped_conv_fwd_dl_multiple_dINS_32GridwiseGemmDlMultipleD_km_kn_mnILi256EDF16_fNS_5TupleIJDF16_EEEDF16_NS0_12element_wise11PassThroughES8_NS7_7AddReluELNS_25InMemoryDataOperationEnumE0ENS_16TensorDescriptorINS5_IJNS_5EmbedINS5_IJiiiiiEEESD_Lb0EEENS_11PassThroughIiEENS_3PadIiiiLb0EEESI_SI_SG_SG_NSC_INS5_IJiiEEESJ_Lb0EEESK_SK_SG_NS_23Merge_v2_magic_divisionINS5_IJiiiiEEEEESN_NS_8RightPadIiiLb0EEESP_NS_7UnMergeISJ_Lb0EEESG_EEENS5_IJNS_8SequenceIJLi0EEEENST_IJLi1EEEENST_IJLi2EEEENST_IJLi3EEEENST_IJLi4EEEENST_IJLi5EEEENST_IJLi6EEEENST_IJLi7EEEENST_IJLi8EEEENST_IJLi9EEEENST_IJLi10EEEENST_IJLi11ELi13ELi15ELi17EEEENST_IJLi12ELi14ELi16ELi18EEEENST_IJLi19EEEENST_IJLi20EEEENST_IJLi22EEEENST_IJLi21EEEEEEENS5_IJNST_IJLi1ELi2ELi3ELi4ELi5EEEES10_S11_S12_S13_S14_NST_IJLi11EEEENST_IJLi12ELi13EEEENST_IJLi14ELi15EEEENST_IJLi16ELi17EEEENST_IJLi18EEEES17_S18_S1A_S19_NST_IJLi23ELi24EEEENST_IJLi25EEEEEEENST_IJLi23ELi25ELi24EEEElEENSB_INS5_IJSR_SP_SP_SR_SG_EEENS5_IJSU_SV_SW_SY_SX_EEENS5_IJNST_IJLi1ELi2EEEESX_SY_NST_IJLi5ELi6EEEES11_EEENST_IJLi5ELi7ELi6EEEElEENSB_INS5_IJSK_SP_SP_EEENS5_IJSU_SV_SW_EEENS5_IJS1P_SX_SY_EEENST_IJLi3ELi4EEEElEELi128ELi128ELi16ELi2ELi4ELi4ELi1ENST_IJLi8ELi2EEEES1Z_NST_IJLi8ELi1ELi1ELi2EEEENST_IJLi2ELi1ELi128ELi1EEEENST_IJLi1ELi2ELi0ELi3EEEES22_NST_IJLi4ELi1ELi1ELi2EEEES22_NST_IJLi1ELi1ELi1ELi2EEEES20_S21_S22_S22_S23_S22_S24_NST_IJLi0ELi1ELi2ELi3ELi4ELi5EEEELi5ELi4EEEDF16_NS5_IJPKDF16_EEEDF16_S8_S8_S9_NSB_INS5_IJSE_SG_SI_SI_SI_SG_SG_SK_SK_SK_SG_SN_SN_SP_SP_SR_SG_SG_NSQ_INS5_IJiNS_17integral_constantIiLi128EEEEEELb0EEENSF_INS2A_IiLi2EEEEEEEENS5_IJSU_SV_SW_SX_SY_SZ_S10_S11_S12_S13_S14_S15_S16_S17_S18_S19_S1A_NST_IJLi23EEEES1J_NST_IJLi24EEEEEEENS5_IJS1C_S10_S11_S12_S13_S14_S1D_S1E_S1F_S1G_S1H_S17_S18_S1A_S19_S1I_S1J_NST_IJLi26EEEENST_IJLi27ELi28EEEENST_IJLi29EEEEEEENST_IJLi26ELi27ELi28ELi29EEEElEENSB_INS5_IJSR_SP_SP_SR_SG_SG_S2D_S2F_EEENS5_IJSU_SV_SW_SY_SX_SZ_S11_S10_EEENS5_IJS1P_SX_SY_S1Q_S11_S12_NST_IJLi9ELi10EEEES1D_EEENST_IJLi8ELi9ELi10ELi11EEEElEENS5_IJNSB_INS5_IJSK_SP_SP_NSQ_INS5_IJiS2E_NS2A_IiLi64EEEEEELb0EEES2Y_EEENS5_IJSU_SV_SW_SX_SY_EEENS5_IJS1P_SX_SY_NST_IJLi5ELi6ELi7EEEENST_IJLi8ELi9ELi10EEEEEEENST_IJLi5ELi6ELi7ELi8ELi9ELi10EEEElEEEEES35_NS_31BlockToCTileMap_M00_N00_M01_N01ILi128ELi128ES1Y_Lb0EEENS1_30ComputePtrOffsetOfStridedBatchILi1ELi1ELi1EvEELb0ELb0EEEvPKT0_S3D_T1_PT2_T3_T4_T5_iT6_T7_T8_T9_T10_T11_ ; -- Begin function _ZN2ck16tensor_operation6device12_GLOBAL__N_137kernel_grouped_conv_fwd_dl_multiple_dINS_32GridwiseGemmDlMultipleD_km_kn_mnILi256EDF16_fNS_5TupleIJDF16_EEEDF16_NS0_12element_wise11PassThroughES8_NS7_7AddReluELNS_25InMemoryDataOperationEnumE0ENS_16TensorDescriptorINS5_IJNS_5EmbedINS5_IJiiiiiEEESD_Lb0EEENS_11PassThroughIiEENS_3PadIiiiLb0EEESI_SI_SG_SG_NSC_INS5_IJiiEEESJ_Lb0EEESK_SK_SG_NS_23Merge_v2_magic_divisionINS5_IJiiiiEEEEESN_NS_8RightPadIiiLb0EEESP_NS_7UnMergeISJ_Lb0EEESG_EEENS5_IJNS_8SequenceIJLi0EEEENST_IJLi1EEEENST_IJLi2EEEENST_IJLi3EEEENST_IJLi4EEEENST_IJLi5EEEENST_IJLi6EEEENST_IJLi7EEEENST_IJLi8EEEENST_IJLi9EEEENST_IJLi10EEEENST_IJLi11ELi13ELi15ELi17EEEENST_IJLi12ELi14ELi16ELi18EEEENST_IJLi19EEEENST_IJLi20EEEENST_IJLi22EEEENST_IJLi21EEEEEEENS5_IJNST_IJLi1ELi2ELi3ELi4ELi5EEEES10_S11_S12_S13_S14_NST_IJLi11EEEENST_IJLi12ELi13EEEENST_IJLi14ELi15EEEENST_IJLi16ELi17EEEENST_IJLi18EEEES17_S18_S1A_S19_NST_IJLi23ELi24EEEENST_IJLi25EEEEEEENST_IJLi23ELi25ELi24EEEElEENSB_INS5_IJSR_SP_SP_SR_SG_EEENS5_IJSU_SV_SW_SY_SX_EEENS5_IJNST_IJLi1ELi2EEEESX_SY_NST_IJLi5ELi6EEEES11_EEENST_IJLi5ELi7ELi6EEEElEENSB_INS5_IJSK_SP_SP_EEENS5_IJSU_SV_SW_EEENS5_IJS1P_SX_SY_EEENST_IJLi3ELi4EEEElEELi128ELi128ELi16ELi2ELi4ELi4ELi1ENST_IJLi8ELi2EEEES1Z_NST_IJLi8ELi1ELi1ELi2EEEENST_IJLi2ELi1ELi128ELi1EEEENST_IJLi1ELi2ELi0ELi3EEEES22_NST_IJLi4ELi1ELi1ELi2EEEES22_NST_IJLi1ELi1ELi1ELi2EEEES20_S21_S22_S22_S23_S22_S24_NST_IJLi0ELi1ELi2ELi3ELi4ELi5EEEELi5ELi4EEEDF16_NS5_IJPKDF16_EEEDF16_S8_S8_S9_NSB_INS5_IJSE_SG_SI_SI_SI_SG_SG_SK_SK_SK_SG_SN_SN_SP_SP_SR_SG_SG_NSQ_INS5_IJiNS_17integral_constantIiLi128EEEEEELb0EEENSF_INS2A_IiLi2EEEEEEEENS5_IJSU_SV_SW_SX_SY_SZ_S10_S11_S12_S13_S14_S15_S16_S17_S18_S19_S1A_NST_IJLi23EEEES1J_NST_IJLi24EEEEEEENS5_IJS1C_S10_S11_S12_S13_S14_S1D_S1E_S1F_S1G_S1H_S17_S18_S1A_S19_S1I_S1J_NST_IJLi26EEEENST_IJLi27ELi28EEEENST_IJLi29EEEEEEENST_IJLi26ELi27ELi28ELi29EEEElEENSB_INS5_IJSR_SP_SP_SR_SG_SG_S2D_S2F_EEENS5_IJSU_SV_SW_SY_SX_SZ_S11_S10_EEENS5_IJS1P_SX_SY_S1Q_S11_S12_NST_IJLi9ELi10EEEES1D_EEENST_IJLi8ELi9ELi10ELi11EEEElEENS5_IJNSB_INS5_IJSK_SP_SP_NSQ_INS5_IJiS2E_NS2A_IiLi64EEEEEELb0EEES2Y_EEENS5_IJSU_SV_SW_SX_SY_EEENS5_IJS1P_SX_SY_NST_IJLi5ELi6ELi7EEEENST_IJLi8ELi9ELi10EEEEEEENST_IJLi5ELi6ELi7ELi8ELi9ELi10EEEElEEEEES35_NS_31BlockToCTileMap_M00_N00_M01_N01ILi128ELi128ES1Y_Lb0EEENS1_30ComputePtrOffsetOfStridedBatchILi1ELi1ELi1EvEELb0ELb0EEEvPKT0_S3D_T1_PT2_T3_T4_T5_iT6_T7_T8_T9_T10_T11_
	.p2align	8
	.type	_ZN2ck16tensor_operation6device12_GLOBAL__N_137kernel_grouped_conv_fwd_dl_multiple_dINS_32GridwiseGemmDlMultipleD_km_kn_mnILi256EDF16_fNS_5TupleIJDF16_EEEDF16_NS0_12element_wise11PassThroughES8_NS7_7AddReluELNS_25InMemoryDataOperationEnumE0ENS_16TensorDescriptorINS5_IJNS_5EmbedINS5_IJiiiiiEEESD_Lb0EEENS_11PassThroughIiEENS_3PadIiiiLb0EEESI_SI_SG_SG_NSC_INS5_IJiiEEESJ_Lb0EEESK_SK_SG_NS_23Merge_v2_magic_divisionINS5_IJiiiiEEEEESN_NS_8RightPadIiiLb0EEESP_NS_7UnMergeISJ_Lb0EEESG_EEENS5_IJNS_8SequenceIJLi0EEEENST_IJLi1EEEENST_IJLi2EEEENST_IJLi3EEEENST_IJLi4EEEENST_IJLi5EEEENST_IJLi6EEEENST_IJLi7EEEENST_IJLi8EEEENST_IJLi9EEEENST_IJLi10EEEENST_IJLi11ELi13ELi15ELi17EEEENST_IJLi12ELi14ELi16ELi18EEEENST_IJLi19EEEENST_IJLi20EEEENST_IJLi22EEEENST_IJLi21EEEEEEENS5_IJNST_IJLi1ELi2ELi3ELi4ELi5EEEES10_S11_S12_S13_S14_NST_IJLi11EEEENST_IJLi12ELi13EEEENST_IJLi14ELi15EEEENST_IJLi16ELi17EEEENST_IJLi18EEEES17_S18_S1A_S19_NST_IJLi23ELi24EEEENST_IJLi25EEEEEEENST_IJLi23ELi25ELi24EEEElEENSB_INS5_IJSR_SP_SP_SR_SG_EEENS5_IJSU_SV_SW_SY_SX_EEENS5_IJNST_IJLi1ELi2EEEESX_SY_NST_IJLi5ELi6EEEES11_EEENST_IJLi5ELi7ELi6EEEElEENSB_INS5_IJSK_SP_SP_EEENS5_IJSU_SV_SW_EEENS5_IJS1P_SX_SY_EEENST_IJLi3ELi4EEEElEELi128ELi128ELi16ELi2ELi4ELi4ELi1ENST_IJLi8ELi2EEEES1Z_NST_IJLi8ELi1ELi1ELi2EEEENST_IJLi2ELi1ELi128ELi1EEEENST_IJLi1ELi2ELi0ELi3EEEES22_NST_IJLi4ELi1ELi1ELi2EEEES22_NST_IJLi1ELi1ELi1ELi2EEEES20_S21_S22_S22_S23_S22_S24_NST_IJLi0ELi1ELi2ELi3ELi4ELi5EEEELi5ELi4EEEDF16_NS5_IJPKDF16_EEEDF16_S8_S8_S9_NSB_INS5_IJSE_SG_SI_SI_SI_SG_SG_SK_SK_SK_SG_SN_SN_SP_SP_SR_SG_SG_NSQ_INS5_IJiNS_17integral_constantIiLi128EEEEEELb0EEENSF_INS2A_IiLi2EEEEEEEENS5_IJSU_SV_SW_SX_SY_SZ_S10_S11_S12_S13_S14_S15_S16_S17_S18_S19_S1A_NST_IJLi23EEEES1J_NST_IJLi24EEEEEEENS5_IJS1C_S10_S11_S12_S13_S14_S1D_S1E_S1F_S1G_S1H_S17_S18_S1A_S19_S1I_S1J_NST_IJLi26EEEENST_IJLi27ELi28EEEENST_IJLi29EEEEEEENST_IJLi26ELi27ELi28ELi29EEEElEENSB_INS5_IJSR_SP_SP_SR_SG_SG_S2D_S2F_EEENS5_IJSU_SV_SW_SY_SX_SZ_S11_S10_EEENS5_IJS1P_SX_SY_S1Q_S11_S12_NST_IJLi9ELi10EEEES1D_EEENST_IJLi8ELi9ELi10ELi11EEEElEENS5_IJNSB_INS5_IJSK_SP_SP_NSQ_INS5_IJiS2E_NS2A_IiLi64EEEEEELb0EEES2Y_EEENS5_IJSU_SV_SW_SX_SY_EEENS5_IJS1P_SX_SY_NST_IJLi5ELi6ELi7EEEENST_IJLi8ELi9ELi10EEEEEEENST_IJLi5ELi6ELi7ELi8ELi9ELi10EEEElEEEEES35_NS_31BlockToCTileMap_M00_N00_M01_N01ILi128ELi128ES1Y_Lb0EEENS1_30ComputePtrOffsetOfStridedBatchILi1ELi1ELi1EvEELb0ELb0EEEvPKT0_S3D_T1_PT2_T3_T4_T5_iT6_T7_T8_T9_T10_T11_,@function
_ZN2ck16tensor_operation6device12_GLOBAL__N_137kernel_grouped_conv_fwd_dl_multiple_dINS_32GridwiseGemmDlMultipleD_km_kn_mnILi256EDF16_fNS_5TupleIJDF16_EEEDF16_NS0_12element_wise11PassThroughES8_NS7_7AddReluELNS_25InMemoryDataOperationEnumE0ENS_16TensorDescriptorINS5_IJNS_5EmbedINS5_IJiiiiiEEESD_Lb0EEENS_11PassThroughIiEENS_3PadIiiiLb0EEESI_SI_SG_SG_NSC_INS5_IJiiEEESJ_Lb0EEESK_SK_SG_NS_23Merge_v2_magic_divisionINS5_IJiiiiEEEEESN_NS_8RightPadIiiLb0EEESP_NS_7UnMergeISJ_Lb0EEESG_EEENS5_IJNS_8SequenceIJLi0EEEENST_IJLi1EEEENST_IJLi2EEEENST_IJLi3EEEENST_IJLi4EEEENST_IJLi5EEEENST_IJLi6EEEENST_IJLi7EEEENST_IJLi8EEEENST_IJLi9EEEENST_IJLi10EEEENST_IJLi11ELi13ELi15ELi17EEEENST_IJLi12ELi14ELi16ELi18EEEENST_IJLi19EEEENST_IJLi20EEEENST_IJLi22EEEENST_IJLi21EEEEEEENS5_IJNST_IJLi1ELi2ELi3ELi4ELi5EEEES10_S11_S12_S13_S14_NST_IJLi11EEEENST_IJLi12ELi13EEEENST_IJLi14ELi15EEEENST_IJLi16ELi17EEEENST_IJLi18EEEES17_S18_S1A_S19_NST_IJLi23ELi24EEEENST_IJLi25EEEEEEENST_IJLi23ELi25ELi24EEEElEENSB_INS5_IJSR_SP_SP_SR_SG_EEENS5_IJSU_SV_SW_SY_SX_EEENS5_IJNST_IJLi1ELi2EEEESX_SY_NST_IJLi5ELi6EEEES11_EEENST_IJLi5ELi7ELi6EEEElEENSB_INS5_IJSK_SP_SP_EEENS5_IJSU_SV_SW_EEENS5_IJS1P_SX_SY_EEENST_IJLi3ELi4EEEElEELi128ELi128ELi16ELi2ELi4ELi4ELi1ENST_IJLi8ELi2EEEES1Z_NST_IJLi8ELi1ELi1ELi2EEEENST_IJLi2ELi1ELi128ELi1EEEENST_IJLi1ELi2ELi0ELi3EEEES22_NST_IJLi4ELi1ELi1ELi2EEEES22_NST_IJLi1ELi1ELi1ELi2EEEES20_S21_S22_S22_S23_S22_S24_NST_IJLi0ELi1ELi2ELi3ELi4ELi5EEEELi5ELi4EEEDF16_NS5_IJPKDF16_EEEDF16_S8_S8_S9_NSB_INS5_IJSE_SG_SI_SI_SI_SG_SG_SK_SK_SK_SG_SN_SN_SP_SP_SR_SG_SG_NSQ_INS5_IJiNS_17integral_constantIiLi128EEEEEELb0EEENSF_INS2A_IiLi2EEEEEEEENS5_IJSU_SV_SW_SX_SY_SZ_S10_S11_S12_S13_S14_S15_S16_S17_S18_S19_S1A_NST_IJLi23EEEES1J_NST_IJLi24EEEEEEENS5_IJS1C_S10_S11_S12_S13_S14_S1D_S1E_S1F_S1G_S1H_S17_S18_S1A_S19_S1I_S1J_NST_IJLi26EEEENST_IJLi27ELi28EEEENST_IJLi29EEEEEEENST_IJLi26ELi27ELi28ELi29EEEElEENSB_INS5_IJSR_SP_SP_SR_SG_SG_S2D_S2F_EEENS5_IJSU_SV_SW_SY_SX_SZ_S11_S10_EEENS5_IJS1P_SX_SY_S1Q_S11_S12_NST_IJLi9ELi10EEEES1D_EEENST_IJLi8ELi9ELi10ELi11EEEElEENS5_IJNSB_INS5_IJSK_SP_SP_NSQ_INS5_IJiS2E_NS2A_IiLi64EEEEEELb0EEES2Y_EEENS5_IJSU_SV_SW_SX_SY_EEENS5_IJS1P_SX_SY_NST_IJLi5ELi6ELi7EEEENST_IJLi8ELi9ELi10EEEEEEENST_IJLi5ELi6ELi7ELi8ELi9ELi10EEEElEEEEES35_NS_31BlockToCTileMap_M00_N00_M01_N01ILi128ELi128ES1Y_Lb0EEENS1_30ComputePtrOffsetOfStridedBatchILi1ELi1ELi1EvEELb0ELb0EEEvPKT0_S3D_T1_PT2_T3_T4_T5_iT6_T7_T8_T9_T10_T11_: ; @_ZN2ck16tensor_operation6device12_GLOBAL__N_137kernel_grouped_conv_fwd_dl_multiple_dINS_32GridwiseGemmDlMultipleD_km_kn_mnILi256EDF16_fNS_5TupleIJDF16_EEEDF16_NS0_12element_wise11PassThroughES8_NS7_7AddReluELNS_25InMemoryDataOperationEnumE0ENS_16TensorDescriptorINS5_IJNS_5EmbedINS5_IJiiiiiEEESD_Lb0EEENS_11PassThroughIiEENS_3PadIiiiLb0EEESI_SI_SG_SG_NSC_INS5_IJiiEEESJ_Lb0EEESK_SK_SG_NS_23Merge_v2_magic_divisionINS5_IJiiiiEEEEESN_NS_8RightPadIiiLb0EEESP_NS_7UnMergeISJ_Lb0EEESG_EEENS5_IJNS_8SequenceIJLi0EEEENST_IJLi1EEEENST_IJLi2EEEENST_IJLi3EEEENST_IJLi4EEEENST_IJLi5EEEENST_IJLi6EEEENST_IJLi7EEEENST_IJLi8EEEENST_IJLi9EEEENST_IJLi10EEEENST_IJLi11ELi13ELi15ELi17EEEENST_IJLi12ELi14ELi16ELi18EEEENST_IJLi19EEEENST_IJLi20EEEENST_IJLi22EEEENST_IJLi21EEEEEEENS5_IJNST_IJLi1ELi2ELi3ELi4ELi5EEEES10_S11_S12_S13_S14_NST_IJLi11EEEENST_IJLi12ELi13EEEENST_IJLi14ELi15EEEENST_IJLi16ELi17EEEENST_IJLi18EEEES17_S18_S1A_S19_NST_IJLi23ELi24EEEENST_IJLi25EEEEEEENST_IJLi23ELi25ELi24EEEElEENSB_INS5_IJSR_SP_SP_SR_SG_EEENS5_IJSU_SV_SW_SY_SX_EEENS5_IJNST_IJLi1ELi2EEEESX_SY_NST_IJLi5ELi6EEEES11_EEENST_IJLi5ELi7ELi6EEEElEENSB_INS5_IJSK_SP_SP_EEENS5_IJSU_SV_SW_EEENS5_IJS1P_SX_SY_EEENST_IJLi3ELi4EEEElEELi128ELi128ELi16ELi2ELi4ELi4ELi1ENST_IJLi8ELi2EEEES1Z_NST_IJLi8ELi1ELi1ELi2EEEENST_IJLi2ELi1ELi128ELi1EEEENST_IJLi1ELi2ELi0ELi3EEEES22_NST_IJLi4ELi1ELi1ELi2EEEES22_NST_IJLi1ELi1ELi1ELi2EEEES20_S21_S22_S22_S23_S22_S24_NST_IJLi0ELi1ELi2ELi3ELi4ELi5EEEELi5ELi4EEEDF16_NS5_IJPKDF16_EEEDF16_S8_S8_S9_NSB_INS5_IJSE_SG_SI_SI_SI_SG_SG_SK_SK_SK_SG_SN_SN_SP_SP_SR_SG_SG_NSQ_INS5_IJiNS_17integral_constantIiLi128EEEEEELb0EEENSF_INS2A_IiLi2EEEEEEEENS5_IJSU_SV_SW_SX_SY_SZ_S10_S11_S12_S13_S14_S15_S16_S17_S18_S19_S1A_NST_IJLi23EEEES1J_NST_IJLi24EEEEEEENS5_IJS1C_S10_S11_S12_S13_S14_S1D_S1E_S1F_S1G_S1H_S17_S18_S1A_S19_S1I_S1J_NST_IJLi26EEEENST_IJLi27ELi28EEEENST_IJLi29EEEEEEENST_IJLi26ELi27ELi28ELi29EEEElEENSB_INS5_IJSR_SP_SP_SR_SG_SG_S2D_S2F_EEENS5_IJSU_SV_SW_SY_SX_SZ_S11_S10_EEENS5_IJS1P_SX_SY_S1Q_S11_S12_NST_IJLi9ELi10EEEES1D_EEENST_IJLi8ELi9ELi10ELi11EEEElEENS5_IJNSB_INS5_IJSK_SP_SP_NSQ_INS5_IJiS2E_NS2A_IiLi64EEEEEELb0EEES2Y_EEENS5_IJSU_SV_SW_SX_SY_EEENS5_IJS1P_SX_SY_NST_IJLi5ELi6ELi7EEEENST_IJLi8ELi9ELi10EEEEEEENST_IJLi5ELi6ELi7ELi8ELi9ELi10EEEElEEEEES35_NS_31BlockToCTileMap_M00_N00_M01_N01ILi128ELi128ES1Y_Lb0EEENS1_30ComputePtrOffsetOfStridedBatchILi1ELi1ELi1EvEELb0ELb0EEEvPKT0_S3D_T1_PT2_T3_T4_T5_iT6_T7_T8_T9_T10_T11_
; %bb.0:
	s_clause 0x6
	s_load_dword s8, s[4:5], 0x24
	s_load_dwordx4 s[0:3], s[4:5], 0x3c
	s_load_dword s7, s[4:5], 0x4c
	s_load_dword s10, s[4:5], 0x300
	s_load_dwordx8 s[16:23], s[4:5], 0x0
	s_load_dword s33, s[4:5], 0x58
	s_load_dwordx4 s[40:43], s[4:5], 0x54
	v_lshlrev_b32_e32 v2, 3, v0
	s_load_dwordx4 s[72:75], s[4:5], 0x2c0
	v_lshrrev_b32_e32 v22, 1, v0
	s_mov_b32 s39, 0x31014000
	v_lshrrev_b32_e32 v23, 5, v0
	v_and_b32_e32 v41, 8, v2
	s_mov_b32 s63, s39
	v_lshlrev_b32_e32 v81, 2, v22
	v_mov_b32_e32 v65, 0
	v_lshlrev_b32_e32 v67, 6, v23
	v_lshlrev_b32_e32 v23, 3, v23
	v_mov_b32_e32 v66, 0
	v_mov_b32_e32 v46, 0
	;; [unrolled: 1-line block ×4, first 2 shown]
	s_waitcnt lgkmcnt(0)
	s_abs_i32 s9, s8
	v_mov_b32_e32 v62, 0
	v_cvt_f32_u32_e32 v1, s9
	s_sub_i32 s12, 0, s9
	s_abs_i32 s13, s10
	s_xor_b32 s8, s10, s8
	v_mov_b32_e32 v39, 0
	v_rcp_iflag_f32_e32 v1, v1
	s_ashr_i32 s8, s8, 31
	v_mov_b32_e32 v40, 0
	v_mov_b32_e32 v56, 0
	;; [unrolled: 1-line block ×8, first 2 shown]
	v_mul_f32_e32 v1, 0x4f7ffffe, v1
	v_mov_b32_e32 v28, 0
	v_mov_b32_e32 v75, 0
	;; [unrolled: 1-line block ×4, first 2 shown]
	v_cvt_u32_f32_e32 v1, v1
	v_mov_b32_e32 v45, 0
	v_mov_b32_e32 v73, 0
	;; [unrolled: 1-line block ×4, first 2 shown]
	v_readfirstlane_b32 s11, v1
	v_mov_b32_e32 v43, 0
	v_mov_b32_e32 v68, 0
	;; [unrolled: 1-line block ×4, first 2 shown]
	s_mul_i32 s12, s12, s11
	v_mov_b32_e32 v38, 0
	s_mul_hi_u32 s12, s11, s12
	v_mov_b32_e32 v63, 0
	s_add_i32 s11, s11, s12
	v_mov_b32_e32 v58, 0
	s_mul_hi_u32 s11, s13, s11
	v_mov_b32_e32 v31, 0
	s_mul_i32 s10, s11, s9
	s_add_i32 s12, s11, 1
	s_sub_i32 s10, s13, s10
	v_mov_b32_e32 v32, 0
	s_sub_i32 s13, s10, s9
	s_cmp_ge_u32 s10, s9
	v_mov_b32_e32 v59, 0
	s_cselect_b32 s11, s12, s11
	s_cselect_b32 s10, s13, s10
	s_add_i32 s12, s11, 1
	s_cmp_ge_u32 s10, s9
	v_mov_b32_e32 v60, 0
	s_cselect_b32 s9, s12, s11
	s_abs_i32 s37, s6
	s_xor_b32 s9, s9, s8
	v_mov_b32_e32 v54, 0
	s_sub_i32 s35, s9, s8
	s_clause 0x4
	s_load_dword s41, s[4:5], 0x64
	s_load_dwordx4 s[44:47], s[4:5], 0x60
	s_load_dword s43, s[4:5], 0x70
	s_load_dwordx4 s[48:51], s[4:5], 0x6c
	s_load_dwordx8 s[8:15], s[4:5], 0xec
	s_abs_i32 s34, s35
	s_load_dwordx4 s[56:59], s[4:5], 0x10c
	s_waitcnt lgkmcnt(0)
	s_clause 0x2
	s_load_dword s45, s[4:5], 0x120
	s_load_dword s47, s[4:5], 0x12c
	;; [unrolled: 1-line block ×3, first 2 shown]
	v_cvt_f32_u32_e32 v1, s34
	s_sub_i32 s24, 0, s34
	s_xor_b32 s35, s6, s35
	s_clause 0x1
	s_load_dwordx4 s[52:55], s[4:5], 0x298
	s_load_dwordx4 s[68:71], s[4:5], 0x2ac
	s_ashr_i32 s35, s35, 31
	v_rcp_iflag_f32_e32 v1, v1
	v_mov_b32_e32 v55, 0
	v_mov_b32_e32 v20, 0
	;; [unrolled: 1-line block ×9, first 2 shown]
	v_mul_f32_e32 v1, 0x4f7ffffe, v1
	v_mov_b32_e32 v29, 0
	v_mov_b32_e32 v30, 0
	;; [unrolled: 1-line block ×3, first 2 shown]
	s_waitcnt lgkmcnt(0)
	v_mul_lo_u32 v84, s11, v41
	v_cvt_u32_f32_e32 v1, v1
	v_mov_b32_e32 v74, 0
	v_mov_b32_e32 v70, 0
	v_readfirstlane_b32 s15, v1
	v_or_b32_e32 v1, 4, v41
	v_cmp_gt_i32_e32 vcc_lo, s47, v84
	s_mul_i32 s36, s24, s15
	s_load_dwordx8 s[24:31], s[4:5], 0x2d8
	s_mul_hi_u32 s36, s15, s36
	v_mul_lo_u32 v85, s11, v1
	s_add_i32 s15, s15, s36
	v_mul_hi_u32 v1, v84, s14
	s_mul_hi_u32 s15, s37, s15
	s_mul_i32 s36, s15, s34
	s_sub_i32 s36, s37, s36
	s_add_i32 s37, s15, 1
	s_sub_i32 s38, s36, s34
	s_cmp_ge_u32 s36, s34
	v_mul_hi_u32 v2, v85, s14
	s_cselect_b32 s15, s37, s15
	s_cselect_b32 s36, s38, s36
	s_add_i32 s37, s15, 1
	s_cmp_ge_u32 s36, s34
	s_mul_hi_u32 s38, s71, s6
	s_cselect_b32 s15, s37, s15
	v_add_nc_u32_e32 v1, v84, v1
	s_xor_b32 s15, s15, s35
	v_add_nc_u32_e32 v2, v85, v2
	s_sub_i32 s11, s15, s35
	v_lshrrev_b32_e32 v4, s58, v1
	s_ashr_i32 s15, s11, 31
	s_waitcnt lgkmcnt(0)
	s_mul_hi_u32 s35, s24, s11
	s_mul_i32 s34, s24, s11
	s_mul_hi_u32 s51, s28, s11
	s_mul_i32 s24, s24, s15
	s_mul_i32 s59, s26, s15
	;; [unrolled: 1-line block ×4, first 2 shown]
	s_mul_hi_u32 s37, s26, s11
	s_mul_i32 s29, s29, s11
	s_add_i32 s15, s51, s15
	s_mul_hi_u32 s49, s30, s11
	s_mul_i32 s25, s25, s11
	s_mul_i32 s27, s27, s11
	;; [unrolled: 1-line block ×3, first 2 shown]
	s_add_i32 s24, s35, s24
	s_add_i32 s28, s37, s59
	;; [unrolled: 1-line block ×3, first 2 shown]
	s_mul_i32 s31, s31, s11
	s_add_i32 s49, s49, s60
	s_add_i32 s35, s24, s25
	;; [unrolled: 1-line block ×3, first 2 shown]
	s_lshl_b64 s[28:29], s[36:37], 1
	s_add_i32 s27, s49, s31
	s_add_u32 s28, s20, s28
	s_addc_u32 s29, s21, s29
	s_lshl_b64 s[20:21], s[34:35], 1
	s_mul_i32 s24, s26, s11
	s_add_u32 s36, s16, s20
	s_addc_u32 s37, s17, s21
	s_lshl_b64 s[16:17], s[24:25], 1
	s_mul_i32 s26, s30, s11
	s_add_u32 s60, s18, s16
	s_addc_u32 s11, s19, s17
	s_lshl_b64 s[16:17], s[26:27], 1
	v_lshrrev_b32_e32 v6, s58, v2
	s_add_u32 s24, s22, s16
	s_addc_u32 s25, s23, s17
	s_add_i32 s14, s6, s38
	s_load_dwordx8 s[16:23], s[4:5], 0xb8
	s_lshr_b32 s38, s14, s75
	s_clause 0x2
	s_load_dword s14, s[4:5], 0x27c
	s_load_dword s58, s[4:5], 0x28c
	s_load_dwordx4 s[64:67], s[4:5], 0xd8
	s_mul_hi_u32 s15, s38, s70
	v_mul_hi_u32 v1, v4, s13
	s_add_i32 s15, s38, s15
	v_mul_hi_u32 v2, v6, s13
	s_lshr_b32 s49, s15, s74
	s_clause 0x2
	s_load_dwordx2 s[26:27], s[4:5], 0x88
	s_load_dwordx2 s[30:31], s[4:5], 0x98
	;; [unrolled: 1-line block ×3, first 2 shown]
	s_mul_hi_u32 s15, s49, s69
	s_and_b32 s61, s11, 0xffff
	s_add_i32 s15, s49, s15
	v_add_nc_u32_e32 v1, v4, v1
	s_lshr_b32 s51, s15, s73
	v_add_nc_u32_e32 v2, v6, v2
	s_mul_hi_u32 s15, s51, s68
	s_and_b32 s37, s37, 0xffff
	s_add_i32 s15, s51, s15
	v_lshrrev_b32_e32 v7, s57, v1
	s_lshr_b32 s13, s15, s72
	s_mul_i32 s15, s49, s54
	s_mul_i32 s13, s13, s52
	s_sub_i32 s15, s38, s15
	s_sub_i32 s13, s51, s13
	v_mul_lo_u32 v1, v4, s10
	s_waitcnt lgkmcnt(0)
	s_mul_i32 s13, s13, s14
	v_lshrrev_b32_e32 v8, s57, v2
	s_add_i32 s15, s15, s13
	v_mul_hi_u32 v2, v7, s12
	s_lshl_b32 s19, s15, 7
	v_mul_lo_u32 v5, v7, s9
	v_or_b32_e32 v86, s19, v22
	v_sub_nc_u32_e32 v1, v84, v1
	v_mul_hi_u32 v9, v8, s12
	s_mul_i32 s51, s51, s53
	s_mul_i32 s38, s38, s55
	v_mul_hi_u32 v3, v86, s22
	v_add_nc_u32_e32 v10, v7, v2
	v_mul_lo_u32 v17, v1, s7
	s_clause 0x7
	s_load_dword s52, s[4:5], 0x160
	s_load_dword s54, s[4:5], 0x170
	;; [unrolled: 1-line block ×6, first 2 shown]
	s_load_dwordx2 s[14:15], s[4:5], 0x1d0
	s_load_dword s13, s[4:5], 0x1dc
	s_sub_i32 s6, s6, s38
	v_add_nc_u32_e32 v9, v8, v9
	v_lshrrev_b32_e32 v10, s56, v10
	s_and_b32 s29, s29, 0xffff
	v_add_nc_u32_e32 v3, v86, v3
	s_and_b32 s25, s25, 0xffff
	v_lshrrev_b32_e32 v9, s56, v9
	v_lshrrev_b32_e32 v11, s66, v3
	v_mad_u64_u32 v[2:3], null, v6, s10, v[1:2]
	v_sub_nc_u32_e32 v3, v4, v5
	v_sub_nc_u32_e32 v14, v9, v10
	v_mul_hi_u32 v12, v11, s21
	s_waitcnt lgkmcnt(0)
	s_lshl_b32 s38, s52, 1
	v_mul_lo_u32 v13, s57, v41
	v_mad_u64_u32 v[4:5], null, v8, s9, v[3:4]
	v_mul_lo_u32 v5, v10, s8
	v_sub_nc_u32_e32 v2, v85, v2
	v_mul_lo_u32 v3, v3, s34
	v_add_nc_u32_e32 v12, v11, v12
	v_mul_lo_u32 v87, v14, s26
	s_lshl_b32 s62, s59, 1
	v_sub_nc_u32_e32 v6, v6, v4
	v_mul_lo_u32 v4, v10, s26
	v_lshrrev_b32_e32 v12, s65, v12
	v_mul_lo_u32 v1, v2, s7
	v_sub_nc_u32_e32 v2, v7, v5
	v_mul_lo_u32 v88, v6, s34
	s_sub_i32 s7, s49, s51
	v_mul_hi_u32 v10, v12, s20
	s_mul_i32 s7, s7, s58
	v_mul_lo_u32 v5, v2, s30
	v_mad_u64_u32 v[6:7], null, v9, s8, v[2:3]
	v_mul_lo_u32 v7, v11, s18
	v_mul_lo_u32 v9, v12, s17
	s_add_i32 s6, s6, s7
	v_add_nc_u32_e32 v2, v12, v10
	s_lshl_b32 s18, s6, 7
	v_mul_lo_u32 v18, v87, s1
	v_or_b32_e32 v89, s18, v22
	s_sub_i32 s7, s48, s50
	v_lshrrev_b32_e32 v19, s64, v2
	v_sub_nc_u32_e32 v2, v8, v6
	v_sub_nc_u32_e32 v6, v86, v7
	;; [unrolled: 1-line block ×3, first 2 shown]
	s_sub_i32 s21, s44, s46
	v_mul_lo_u32 v7, v19, s16
	v_mul_lo_u32 v90, v2, s30
	v_mad_u64_u32 v[14:15], null, v6, s35, v[3:4]
	v_mad_u64_u32 v[15:16], null, v8, s31, v[5:6]
	v_mul_lo_u32 v6, v19, s0
	v_cmp_gt_i32_e64 s0, s47, v85
	v_sub_nc_u32_e32 v5, v12, v7
	s_sub_i32 s26, s40, s42
	v_mad_u64_u32 v[2:3], null, v89, s54, v[13:14]
	v_subrev_nc_u32_e32 v3, s43, v14
	v_mad_u64_u32 v[33:34], null, v5, s27, v[4:5]
	v_subrev_nc_u32_e32 v4, s41, v15
	v_lshlrev_b32_e32 v34, 1, v0
	v_cmp_le_i32_e64 s6, s43, v14
	v_mad_u64_u32 v[9:10], null, v88, s3, v[1:2]
	v_mul_lo_u32 v1, v3, s3
	v_mul_lo_u32 v3, v4, s2
	v_subrev_nc_u32_e32 v4, s33, v33
	v_mul_lo_u32 v10, v90, s2
	s_lshl_b32 s2, s57, 2
	v_lshlrev_b32_e32 v5, 1, v2
	v_add_lshl_u32 v8, v2, s2, 1
	v_mul_lo_u32 v7, v4, s1
	v_and_b32_e32 v71, 0x1f8, v34
	v_add3_u32 v11, v1, v17, v3
	buffer_load_dwordx4 v[1:4], v5, s[60:63], 0 offen
	v_add3_u32 v9, v9, v18, v10
	v_and_or_b32 v83, v34, 4, v23
	v_add_nc_u32_e32 v34, s2, v13
	v_cmp_gt_i32_e64 s1, s23, v13
	v_add3_u32 v11, v11, v6, v7
	buffer_load_dwordx4 v[5:8], v8, s[60:63], 0 offen
	v_cmp_gt_i32_e64 s3, s7, v14
	v_add_nc_u32_e32 v13, v14, v88
	v_cmp_gt_i32_e64 s8, s21, v15
	v_lshlrev_b32_e32 v10, 1, v11
	v_add_lshl_u32 v16, v9, v11, 1
	s_clause 0x1
	buffer_load_dwordx4 v[9:12], v10, s[36:39], 0 offen
	buffer_load_dwordx4 v[76:79], v16, s[36:39], 0 offen
	s_clause 0x5
	s_load_dword s17, s[4:5], 0x1e8
	s_load_dword s20, s[4:5], 0x210
	s_load_dwordx2 s[10:11], s[4:5], 0x220
	s_load_dword s9, s[4:5], 0x22c
	s_load_dword s12, s[4:5], 0x238
	;; [unrolled: 1-line block ×3, first 2 shown]
	v_cmp_gt_i32_e64 s4, s22, v89
	s_and_b32 s22, s3, vcc_lo
	v_cmp_gt_i32_e32 vcc_lo, s7, v13
	v_cmp_le_i32_e64 s3, s43, v13
	v_add_nc_u32_e32 v13, v15, v90
	v_cmp_le_i32_e64 s7, s41, v15
	v_add_nc_u32_e32 v14, v33, v87
	s_and_b32 s0, vcc_lo, s0
	v_cmp_gt_i32_e64 s2, s23, v34
	s_and_b32 s23, s0, s3
	v_cmp_le_i32_e32 vcc_lo, s41, v13
	v_cmp_gt_i32_e64 s0, s21, v13
	s_and_b32 s22, s22, s6
	s_and_b32 s7, s7, s8
	v_cmp_le_i32_e64 s3, s33, v33
	v_cmp_gt_i32_e64 s6, s26, v33
	v_lshlrev_b32_e32 v0, 2, v0
	v_sub_nc_u32_e32 v80, v71, v67
	s_and_b32 s21, s22, s7
	v_cmp_le_i32_e64 s7, s33, v14
	v_cmp_gt_i32_e64 s8, s26, v14
	v_cmp_gt_i32_e64 s5, s45, v86
	s_and_b32 s0, vcc_lo, s0
	s_and_b32 vcc_lo, s1, s4
	s_and_b32 s3, s3, s6
	v_and_or_b32 v82, v0, 4, v80
	v_lshl_or_b32 v0, v41, 9, v81
	s_and_b32 s0, s23, s0
	s_and_b32 s3, s21, s3
	;; [unrolled: 1-line block ×3, first 2 shown]
	v_lshlrev_b32_e32 v80, 2, v83
	s_and_b32 s0, s0, s6
	v_lshlrev_b32_e32 v81, 2, v82
	v_mov_b32_e32 v16, 0
	v_mov_b32_e32 v17, 0
	v_mov_b32_e32 v18, 0
	v_mov_b32_e32 v19, 0
	v_mov_b32_e32 v71, 0
	v_mov_b32_e32 v67, 0
	v_mov_b32_e32 v22, 0
	v_mov_b32_e32 v23, 0
	v_mov_b32_e32 v33, 0
	v_mov_b32_e32 v34, 0
	v_mov_b32_e32 v41, 0
	v_or_b32_e32 v83, s19, v83
	v_add_nc_u32_e32 v82, s18, v82
	s_waitcnt lgkmcnt(0)
	s_lshl_b32 s30, s20, 1
	s_mov_b32 s31, s39
	s_lshl_b32 s26, s16, 1
	s_mov_b32 s27, s39
	s_waitcnt vmcnt(3)
	v_cndmask_b32_e32 v4, 0, v4, vcc_lo
	v_cndmask_b32_e32 v3, 0, v3, vcc_lo
	;; [unrolled: 1-line block ×4, first 2 shown]
	s_and_b32 vcc_lo, s2, s4
	s_waitcnt vmcnt(2)
	v_cndmask_b32_e32 v6, 0, v6, vcc_lo
	v_cndmask_b32_e32 v5, 0, v5, vcc_lo
	;; [unrolled: 1-line block ×4, first 2 shown]
	s_and_b32 vcc_lo, s5, s3
	ds_write2st64_b32 v0, v1, v2 offset0:64 offset1:66
	ds_write2st64_b32 v0, v3, v4 offset0:68 offset1:70
	;; [unrolled: 1-line block ×3, first 2 shown]
	s_waitcnt vmcnt(1)
	v_cndmask_b32_e32 v1, 0, v12, vcc_lo
	v_cndmask_b32_e32 v2, 0, v11, vcc_lo
	v_cndmask_b32_e32 v3, 0, v10, vcc_lo
	v_cndmask_b32_e32 v4, 0, v9, vcc_lo
	s_and_b32 vcc_lo, s5, s0
	s_lshl_b32 s0, s15, 6
	s_waitcnt vmcnt(0)
	v_cndmask_b32_e32 v6, 0, v77, vcc_lo
	v_cndmask_b32_e32 v9, 0, v76, vcc_lo
	;; [unrolled: 1-line block ×4, first 2 shown]
	ds_write2st64_b32 v0, v7, v8 offset0:76 offset1:78
	ds_write2st64_b32 v0, v4, v3 offset1:2
	ds_write2st64_b32 v0, v2, v1 offset0:4 offset1:6
	ds_write2st64_b32 v0, v9, v6 offset0:8 offset1:10
	ds_write2st64_b32 v0, v10, v5 offset0:12 offset1:14
	s_waitcnt lgkmcnt(0)
	s_barrier
	buffer_gl0_inv
	ds_read_b128 v[0:3], v80
	ds_read_b128 v[4:7], v81 offset:16384
	ds_read_b128 v[8:11], v81 offset:16640
	;; [unrolled: 1-line block ×13, first 2 shown]
	v_mov_b32_e32 v78, 0
	v_mov_b32_e32 v79, 0
	;; [unrolled: 1-line block ×4, first 2 shown]
	v_cmp_gt_i32_e32 vcc_lo, s17, v82
	s_waitcnt lgkmcnt(10)
	v_dot2c_f32_f16 v74, v12, v8
	v_dot2c_f32_f16 v70, v12, v9
	;; [unrolled: 1-line block ×56, first 2 shown]
	ds_read_b128 v[0:3], v80 offset:1536
	ds_read_b128 v[4:7], v80 offset:1792
	v_dot2c_f32_f16 v78, v14, v8
	v_dot2c_f32_f16 v79, v14, v9
	v_dot2c_f32_f16 v33, v14, v10
	v_dot2c_f32_f16 v34, v14, v11
	v_dot2c_f32_f16 v77, v15, v8
	v_dot2c_f32_f16 v76, v15, v9
	v_dot2c_f32_f16 v41, v15, v10
	v_dot2c_f32_f16 v24, v15, v11
	s_waitcnt lgkmcnt(9)
	v_dot2c_f32_f16 v65, v92, v84
	v_dot2c_f32_f16 v66, v92, v85
	v_dot2c_f32_f16 v46, v92, v86
	v_dot2c_f32_f16 v47, v92, v87
	v_dot2c_f32_f16 v61, v93, v84
	v_dot2c_f32_f16 v62, v93, v85
	v_dot2c_f32_f16 v39, v93, v86
	v_dot2c_f32_f16 v40, v93, v87
	v_dot2c_f32_f16 v56, v94, v84
	v_dot2c_f32_f16 v57, v94, v85
	v_dot2c_f32_f16 v36, v94, v86
	v_dot2c_f32_f16 v37, v94, v87
	v_dot2c_f32_f16 v52, v95, v84
	v_dot2c_f32_f16 v53, v95, v85
	v_dot2c_f32_f16 v27, v95, v86
	v_dot2c_f32_f16 v28, v95, v87
	v_dot2c_f32_f16 v75, v92, v88
	v_dot2c_f32_f16 v72, v92, v89
	v_dot2c_f32_f16 v44, v92, v90
	v_dot2c_f32_f16 v45, v92, v91
	v_dot2c_f32_f16 v73, v93, v88
	v_dot2c_f32_f16 v69, v93, v89
	v_dot2c_f32_f16 v42, v93, v90
	v_dot2c_f32_f16 v43, v93, v91
	v_dot2c_f32_f16 v68, v94, v88
	v_dot2c_f32_f16 v64, v94, v89
	v_dot2c_f32_f16 v35, v94, v90
	v_dot2c_f32_f16 v38, v94, v91
	v_dot2c_f32_f16 v63, v95, v88
	v_dot2c_f32_f16 v58, v95, v89
	v_dot2c_f32_f16 v31, v95, v90
	v_dot2c_f32_f16 v32, v95, v91
	s_waitcnt lgkmcnt(8)
	v_dot2c_f32_f16 v59, v96, v84
	v_dot2c_f32_f16 v60, v96, v85
	v_dot2c_f32_f16 v16, v96, v86
	v_dot2c_f32_f16 v17, v96, v87
	v_dot2c_f32_f16 v54, v97, v84
	v_dot2c_f32_f16 v55, v97, v85
	v_dot2c_f32_f16 v20, v97, v86
	v_dot2c_f32_f16 v21, v97, v87
	v_dot2c_f32_f16 v50, v98, v84
	v_dot2c_f32_f16 v51, v98, v85
	v_dot2c_f32_f16 v25, v98, v86
	v_dot2c_f32_f16 v26, v98, v87
	v_dot2c_f32_f16 v48, v99, v84
	v_dot2c_f32_f16 v49, v99, v85
	v_dot2c_f32_f16 v29, v99, v86
	v_dot2c_f32_f16 v30, v99, v87
	v_dot2c_f32_f16 v74, v96, v88
	v_dot2c_f32_f16 v70, v96, v89
	v_dot2c_f32_f16 v18, v96, v90
	v_dot2c_f32_f16 v19, v96, v91
	v_dot2c_f32_f16 v71, v97, v88
	v_dot2c_f32_f16 v67, v97, v89
	v_dot2c_f32_f16 v22, v97, v90
	v_dot2c_f32_f16 v23, v97, v91
	;; [unrolled: 33-line block ×4, first 2 shown]
	v_dot2c_f32_f16 v78, v114, v104
	v_dot2c_f32_f16 v79, v114, v105
	;; [unrolled: 1-line block ×8, first 2 shown]
	ds_read_b128 v[8:11], v80 offset:2048
	s_waitcnt lgkmcnt(2)
	v_dot2c_f32_f16 v65, v0, v116
	v_dot2c_f32_f16 v66, v0, v117
	;; [unrolled: 1-line block ×32, first 2 shown]
	s_waitcnt lgkmcnt(1)
	v_dot2c_f32_f16 v59, v4, v116
	v_dot2c_f32_f16 v60, v4, v117
	;; [unrolled: 1-line block ×15, first 2 shown]
	ds_read_b128 v[0:3], v81 offset:18432
	ds_read_b128 v[12:15], v81 offset:18688
	v_dot2c_f32_f16 v30, v7, v119
	v_dot2c_f32_f16 v74, v4, v120
	;; [unrolled: 1-line block ×17, first 2 shown]
	ds_read_b128 v[4:7], v80 offset:2304
	s_waitcnt lgkmcnt(2)
	v_dot2c_f32_f16 v65, v8, v0
	v_dot2c_f32_f16 v66, v8, v1
	;; [unrolled: 1-line block ×16, first 2 shown]
	s_waitcnt lgkmcnt(1)
	v_dot2c_f32_f16 v75, v8, v12
	v_dot2c_f32_f16 v72, v8, v13
	;; [unrolled: 1-line block ×16, first 2 shown]
	ds_read_b128 v[8:11], v80 offset:2560
	s_waitcnt lgkmcnt(1)
	v_dot2c_f32_f16 v59, v4, v0
	v_dot2c_f32_f16 v60, v4, v1
	v_dot2c_f32_f16 v16, v4, v2
	v_dot2c_f32_f16 v17, v4, v3
	v_dot2c_f32_f16 v54, v5, v0
	v_dot2c_f32_f16 v55, v5, v1
	v_dot2c_f32_f16 v20, v5, v2
	v_dot2c_f32_f16 v21, v5, v3
	v_dot2c_f32_f16 v50, v6, v0
	v_dot2c_f32_f16 v51, v6, v1
	v_dot2c_f32_f16 v25, v6, v2
	v_dot2c_f32_f16 v26, v6, v3
	v_dot2c_f32_f16 v48, v7, v0
	v_dot2c_f32_f16 v49, v7, v1
	v_dot2c_f32_f16 v29, v7, v2
	ds_read_b128 v[84:87], v81 offset:18944
	v_dot2c_f32_f16 v30, v7, v3
	v_dot2c_f32_f16 v74, v4, v12
	;; [unrolled: 1-line block ×15, first 2 shown]
	ds_read_b128 v[0:3], v81 offset:19200
	v_dot2c_f32_f16 v41, v7, v14
	v_dot2c_f32_f16 v24, v7, v15
	ds_read_b128 v[4:7], v80 offset:2816
	s_waitcnt lgkmcnt(2)
	v_dot2c_f32_f16 v65, v8, v84
	v_dot2c_f32_f16 v66, v8, v85
	;; [unrolled: 1-line block ×16, first 2 shown]
	s_waitcnt lgkmcnt(1)
	v_dot2c_f32_f16 v75, v8, v0
	v_dot2c_f32_f16 v72, v8, v1
	;; [unrolled: 1-line block ×16, first 2 shown]
	ds_read_b128 v[8:11], v80 offset:3072
	s_waitcnt lgkmcnt(1)
	v_dot2c_f32_f16 v59, v4, v84
	v_dot2c_f32_f16 v60, v4, v85
	;; [unrolled: 1-line block ×15, first 2 shown]
	ds_read_b128 v[12:15], v81 offset:19456
	v_dot2c_f32_f16 v30, v7, v87
	v_dot2c_f32_f16 v74, v4, v0
	;; [unrolled: 1-line block ×15, first 2 shown]
	ds_read_b128 v[84:87], v81 offset:19712
	v_dot2c_f32_f16 v41, v7, v2
	v_dot2c_f32_f16 v24, v7, v3
	ds_read_b128 v[0:3], v80 offset:3328
	s_waitcnt lgkmcnt(2)
	v_dot2c_f32_f16 v65, v8, v12
	v_dot2c_f32_f16 v66, v8, v13
	;; [unrolled: 1-line block ×16, first 2 shown]
	s_waitcnt lgkmcnt(1)
	v_dot2c_f32_f16 v75, v8, v84
	v_dot2c_f32_f16 v72, v8, v85
	;; [unrolled: 1-line block ×16, first 2 shown]
	ds_read_b128 v[4:7], v80 offset:3584
	s_waitcnt lgkmcnt(1)
	v_dot2c_f32_f16 v59, v0, v12
	v_dot2c_f32_f16 v60, v0, v13
	;; [unrolled: 1-line block ×15, first 2 shown]
	ds_read_b128 v[8:11], v81 offset:19968
	v_dot2c_f32_f16 v30, v3, v15
	v_dot2c_f32_f16 v74, v0, v84
	;; [unrolled: 1-line block ×15, first 2 shown]
	ds_read_b128 v[12:15], v81 offset:20224
	v_dot2c_f32_f16 v41, v3, v86
	v_dot2c_f32_f16 v24, v3, v87
	ds_read_b128 v[0:3], v80 offset:3840
	s_waitcnt lgkmcnt(2)
	v_dot2c_f32_f16 v65, v4, v8
	v_dot2c_f32_f16 v66, v4, v9
	;; [unrolled: 1-line block ×16, first 2 shown]
	s_waitcnt lgkmcnt(1)
	v_dot2c_f32_f16 v75, v4, v12
	v_dot2c_f32_f16 v72, v4, v13
	;; [unrolled: 1-line block ×16, first 2 shown]
	ds_read_b128 v[4:7], v80 offset:4096
	s_waitcnt lgkmcnt(1)
	v_dot2c_f32_f16 v59, v0, v8
	v_dot2c_f32_f16 v60, v0, v9
	;; [unrolled: 1-line block ×15, first 2 shown]
	ds_read_b128 v[84:87], v81 offset:20480
	v_dot2c_f32_f16 v30, v3, v11
	v_dot2c_f32_f16 v74, v0, v12
	;; [unrolled: 1-line block ×15, first 2 shown]
	ds_read_b128 v[8:11], v81 offset:20736
	v_dot2c_f32_f16 v41, v3, v14
	v_dot2c_f32_f16 v24, v3, v15
	ds_read_b128 v[0:3], v80 offset:4352
	s_waitcnt lgkmcnt(2)
	v_dot2c_f32_f16 v65, v4, v84
	v_dot2c_f32_f16 v66, v4, v85
	;; [unrolled: 1-line block ×16, first 2 shown]
	s_waitcnt lgkmcnt(1)
	v_dot2c_f32_f16 v75, v4, v8
	v_dot2c_f32_f16 v72, v4, v9
	;; [unrolled: 1-line block ×16, first 2 shown]
	ds_read_b128 v[4:7], v80 offset:4608
	s_waitcnt lgkmcnt(1)
	v_dot2c_f32_f16 v59, v0, v84
	v_dot2c_f32_f16 v60, v0, v85
	;; [unrolled: 1-line block ×15, first 2 shown]
	ds_read_b128 v[12:15], v81 offset:20992
	v_dot2c_f32_f16 v30, v3, v87
	ds_read_b128 v[84:87], v81 offset:21248
	v_dot2c_f32_f16 v74, v0, v8
	v_dot2c_f32_f16 v70, v0, v9
	;; [unrolled: 1-line block ×16, first 2 shown]
	ds_read_b128 v[0:3], v80 offset:4864
	s_waitcnt lgkmcnt(2)
	v_dot2c_f32_f16 v65, v4, v12
	v_dot2c_f32_f16 v66, v4, v13
	;; [unrolled: 1-line block ×16, first 2 shown]
	s_waitcnt lgkmcnt(1)
	v_dot2c_f32_f16 v75, v4, v84
	v_dot2c_f32_f16 v72, v4, v85
	;; [unrolled: 1-line block ×16, first 2 shown]
	ds_read_b128 v[4:7], v80 offset:5120
	ds_read_b128 v[8:11], v81 offset:21504
	;; [unrolled: 1-line block ×3, first 2 shown]
	s_waitcnt lgkmcnt(3)
	v_dot2c_f32_f16 v59, v0, v12
	v_dot2c_f32_f16 v60, v0, v13
	;; [unrolled: 1-line block ×32, first 2 shown]
	ds_read_b128 v[0:3], v80 offset:5376
	s_waitcnt lgkmcnt(2)
	v_dot2c_f32_f16 v65, v4, v8
	v_dot2c_f32_f16 v66, v4, v9
	;; [unrolled: 1-line block ×16, first 2 shown]
	s_waitcnt lgkmcnt(1)
	v_dot2c_f32_f16 v75, v4, v88
	v_dot2c_f32_f16 v72, v4, v89
	;; [unrolled: 1-line block ×16, first 2 shown]
	ds_read_b128 v[84:87], v80 offset:5632
	ds_read_b128 v[12:15], v81 offset:22016
	ds_read_b128 v[4:7], v81 offset:22272
	s_waitcnt lgkmcnt(3)
	v_dot2c_f32_f16 v59, v0, v8
	v_dot2c_f32_f16 v60, v0, v9
	;; [unrolled: 1-line block ×16, first 2 shown]
	ds_read_b128 v[8:11], v80 offset:5888
	v_dot2c_f32_f16 v74, v0, v88
	s_waitcnt lgkmcnt(2)
	v_dot2c_f32_f16 v65, v84, v12
	v_dot2c_f32_f16 v66, v84, v13
	;; [unrolled: 1-line block ×4, first 2 shown]
	s_waitcnt lgkmcnt(1)
	v_dot2c_f32_f16 v75, v84, v4
	v_dot2c_f32_f16 v72, v84, v5
	;; [unrolled: 1-line block ×4, first 2 shown]
	v_mul_lo_u32 v84, v83, s14
	v_dot2c_f32_f16 v61, v85, v12
	v_dot2c_f32_f16 v62, v85, v13
	;; [unrolled: 1-line block ×8, first 2 shown]
	v_mad_u64_u32 v[84:85], null, v82, s15, v[84:85]
	v_dot2c_f32_f16 v70, v0, v89
	v_dot2c_f32_f16 v18, v0, v90
	;; [unrolled: 1-line block ×3, first 2 shown]
	s_waitcnt lgkmcnt(0)
	v_dot2c_f32_f16 v59, v8, v12
	v_dot2c_f32_f16 v60, v8, v13
	;; [unrolled: 1-line block ×8, first 2 shown]
	v_lshlrev_b32_e32 v8, 1, v84
	v_dot2c_f32_f16 v71, v1, v88
	v_dot2c_f32_f16 v67, v1, v89
	;; [unrolled: 1-line block ×6, first 2 shown]
	buffer_load_dwordx2 v[88:89], v8, s[28:31], 0 offen
	v_add_lshl_u32 v8, v84, s0, 1
	v_dot2c_f32_f16 v22, v1, v90
	v_dot2c_f32_f16 v23, v1, v91
	;; [unrolled: 1-line block ×6, first 2 shown]
	buffer_load_dwordx2 v[90:91], v8, s[28:31], 0 offen
	v_add_nc_u32_e32 v84, s14, v84
	v_dot2c_f32_f16 v56, v86, v12
	v_dot2c_f32_f16 v57, v86, v13
	;; [unrolled: 1-line block ×4, first 2 shown]
	v_lshlrev_b32_e32 v85, 1, v84
	v_dot2c_f32_f16 v52, v87, v12
	v_dot2c_f32_f16 v53, v87, v13
	;; [unrolled: 1-line block ×4, first 2 shown]
	buffer_load_dwordx2 v[92:93], v85, s[28:31], 0 offen
	v_dot2c_f32_f16 v68, v86, v4
	v_dot2c_f32_f16 v64, v86, v5
	;; [unrolled: 1-line block ×8, first 2 shown]
	ds_read_b128 v[0:3], v80 offset:6144
	v_dot2c_f32_f16 v54, v9, v12
	v_dot2c_f32_f16 v55, v9, v13
	;; [unrolled: 1-line block ×12, first 2 shown]
	ds_read_b128 v[12:15], v81 offset:22528
	v_dot2c_f32_f16 v71, v9, v4
	v_dot2c_f32_f16 v67, v9, v5
	;; [unrolled: 1-line block ×12, first 2 shown]
	ds_read_b128 v[4:7], v81 offset:22784
	v_add_lshl_u32 v86, v84, s0, 1
	v_add_nc_u32_e32 v84, s14, v84
	buffer_load_dwordx2 v[94:95], v86, s[28:31], 0 offen
	v_lshlrev_b32_e32 v85, 1, v84
	v_add_lshl_u32 v86, v84, s0, 1
	v_add_nc_u32_e32 v84, s14, v84
	ds_read_b128 v[8:11], v80 offset:6400
	s_waitcnt lgkmcnt(2)
	v_dot2c_f32_f16 v65, v0, v12
	s_clause 0x1
	buffer_load_dwordx2 v[96:97], v85, s[28:31], 0 offen
	buffer_load_dwordx2 v[98:99], v86, s[28:31], 0 offen
	v_dot2c_f32_f16 v66, v0, v13
	v_dot2c_f32_f16 v46, v0, v14
	;; [unrolled: 1-line block ×3, first 2 shown]
	v_add_lshl_u32 v85, v84, s0, 1
	v_dot2c_f32_f16 v61, v1, v12
	v_dot2c_f32_f16 v62, v1, v13
	s_waitcnt lgkmcnt(1)
	v_dot2c_f32_f16 v75, v0, v4
	v_dot2c_f32_f16 v72, v0, v5
	;; [unrolled: 1-line block ×4, first 2 shown]
	v_lshlrev_b32_e32 v0, 1, v84
	buffer_load_dwordx2 v[102:103], v85, s[28:31], 0 offen
	v_mad_u64_u32 v[84:85], null, s14, 61, v[84:85]
	v_dot2c_f32_f16 v39, v1, v14
	buffer_load_dwordx2 v[100:101], v0, s[28:31], 0 offen
	s_waitcnt lgkmcnt(0)
	v_dot2c_f32_f16 v59, v8, v12
	v_dot2c_f32_f16 v60, v8, v13
	v_dot2c_f32_f16 v16, v8, v14
	v_dot2c_f32_f16 v17, v8, v15
	v_add_lshl_u32 v86, v84, s0, 1
	v_lshlrev_b32_e32 v85, 1, v84
	v_add_nc_u32_e32 v84, s14, v84
	v_dot2c_f32_f16 v54, v9, v12
	v_dot2c_f32_f16 v55, v9, v13
	s_clause 0x1
	buffer_load_dwordx2 v[106:107], v86, s[28:31], 0 offen
	buffer_load_dwordx2 v[104:105], v85, s[28:31], 0 offen
	v_dot2c_f32_f16 v20, v9, v14
	v_dot2c_f32_f16 v21, v9, v15
	;; [unrolled: 1-line block ×10, first 2 shown]
	v_lshlrev_b32_e32 v8, 1, v84
	v_add_lshl_u32 v9, v84, s0, 1
	v_dot2c_f32_f16 v40, v1, v15
	v_dot2c_f32_f16 v56, v2, v12
	;; [unrolled: 1-line block ×29, first 2 shown]
	ds_read_b128 v[12:15], v81 offset:23040
	s_clause 0x1
	buffer_load_dwordx2 v[108:109], v8, s[28:31], 0 offen
	buffer_load_dwordx2 v[110:111], v9, s[28:31], 0 offen
	ds_read_b128 v[0:3], v80 offset:6656
	v_dot2c_f32_f16 v78, v10, v4
	v_dot2c_f32_f16 v79, v10, v5
	;; [unrolled: 1-line block ×8, first 2 shown]
	ds_read_b128 v[4:7], v81 offset:23296
	ds_read_b128 v[8:11], v80 offset:6912
	v_add_nc_u32_e32 v84, s14, v84
	v_lshlrev_b32_e32 v85, 1, v84
	buffer_load_dwordx2 v[112:113], v85, s[28:31], 0 offen
	v_add_lshl_u32 v85, v84, s0, 1
	v_add_nc_u32_e32 v84, s14, v84
	s_waitcnt lgkmcnt(2)
	v_dot2c_f32_f16 v65, v0, v12
	v_dot2c_f32_f16 v66, v0, v13
	;; [unrolled: 1-line block ×4, first 2 shown]
	buffer_load_dwordx2 v[114:115], v85, s[28:31], 0 offen
	s_waitcnt lgkmcnt(1)
	v_dot2c_f32_f16 v75, v0, v4
	v_dot2c_f32_f16 v72, v0, v5
	;; [unrolled: 1-line block ×4, first 2 shown]
	v_add_lshl_u32 v0, v84, s0, 1
	v_dot2c_f32_f16 v61, v1, v12
	v_dot2c_f32_f16 v62, v1, v13
	;; [unrolled: 1-line block ×4, first 2 shown]
	buffer_load_dwordx2 v[118:119], v0, s[28:31], 0 offen
	v_lshlrev_b32_e32 v85, 1, v84
	v_dot2c_f32_f16 v56, v2, v12
	v_dot2c_f32_f16 v57, v2, v13
	;; [unrolled: 1-line block ×4, first 2 shown]
	buffer_load_dwordx2 v[116:117], v85, s[28:31], 0 offen
	v_dot2c_f32_f16 v52, v3, v12
	v_dot2c_f32_f16 v53, v3, v13
	;; [unrolled: 1-line block ×16, first 2 shown]
	ds_read_b128 v[0:3], v80 offset:7168
	s_waitcnt lgkmcnt(1)
	v_dot2c_f32_f16 v59, v8, v12
	v_dot2c_f32_f16 v60, v8, v13
	;; [unrolled: 1-line block ×15, first 2 shown]
	ds_read_b128 v[84:87], v81 offset:23552
	v_dot2c_f32_f16 v30, v11, v15
	v_dot2c_f32_f16 v74, v8, v4
	;; [unrolled: 1-line block ×15, first 2 shown]
	ds_read_b128 v[12:15], v81 offset:23808
	v_dot2c_f32_f16 v41, v11, v6
	v_dot2c_f32_f16 v24, v11, v7
	ds_read_b128 v[4:7], v80 offset:7424
	s_waitcnt lgkmcnt(2)
	v_dot2c_f32_f16 v65, v0, v84
	v_dot2c_f32_f16 v66, v0, v85
	;; [unrolled: 1-line block ×16, first 2 shown]
	s_waitcnt lgkmcnt(1)
	v_dot2c_f32_f16 v75, v0, v12
	v_dot2c_f32_f16 v72, v0, v13
	;; [unrolled: 1-line block ×16, first 2 shown]
	ds_read_b128 v[0:3], v80 offset:7680
	s_waitcnt lgkmcnt(1)
	v_dot2c_f32_f16 v59, v4, v84
	v_dot2c_f32_f16 v60, v4, v85
	;; [unrolled: 1-line block ×15, first 2 shown]
	ds_read_b128 v[8:11], v81 offset:24064
	v_dot2c_f32_f16 v30, v7, v87
	v_dot2c_f32_f16 v74, v4, v12
	;; [unrolled: 1-line block ×17, first 2 shown]
	ds_read_b128 v[4:7], v80 offset:7936
	ds_read_b128 v[84:87], v81 offset:24320
	v_cmp_gt_i32_e64 s0, s13, v83
	s_waitcnt lgkmcnt(2)
	v_dot2c_f32_f16 v46, v0, v10
	v_dot2c_f32_f16 v39, v1, v10
	;; [unrolled: 1-line block ×4, first 2 shown]
	s_and_b32 s1, s0, vcc_lo
	v_dot2c_f32_f16 v65, v0, v8
	v_dot2c_f32_f16 v66, v0, v9
	;; [unrolled: 1-line block ×6, first 2 shown]
	v_or_b32_e32 v12, 1, v83
	v_dot2c_f32_f16 v62, v1, v9
	v_dot2c_f32_f16 v40, v1, v11
	;; [unrolled: 1-line block ×5, first 2 shown]
	s_waitcnt lgkmcnt(1)
	v_dot2c_f32_f16 v16, v4, v10
	v_dot2c_f32_f16 v20, v5, v10
	;; [unrolled: 1-line block ×4, first 2 shown]
	v_add_nc_u32_e32 v10, 64, v82
	s_waitcnt lgkmcnt(0)
	v_dot2c_f32_f16 v75, v0, v84
	v_dot2c_f32_f16 v72, v0, v85
	;; [unrolled: 1-line block ×8, first 2 shown]
	s_waitcnt vmcnt(15)
	v_cndmask_b32_e64 v8, 0, v89, s1
	v_cndmask_b32_e64 v0, 0, v88, s1
	v_cmp_gt_i32_e64 s1, s17, v10
	v_dot2c_f32_f16 v73, v1, v84
	v_dot2c_f32_f16 v69, v1, v85
	;; [unrolled: 1-line block ×4, first 2 shown]
	s_and_b32 s0, s0, s1
	v_dot2c_f32_f16 v68, v2, v84
	v_dot2c_f32_f16 v64, v2, v85
	;; [unrolled: 1-line block ×4, first 2 shown]
	v_cvt_f32_f16_e32 v1, v0
	v_cvt_f32_f16_sdwa v0, v0 dst_sel:DWORD dst_unused:UNUSED_PAD src0_sel:WORD_1
	s_waitcnt vmcnt(14)
	v_cndmask_b32_e64 v2, 0, v90, s0
	v_dot2c_f32_f16 v17, v4, v11
	v_dot2c_f32_f16 v21, v5, v11
	;; [unrolled: 1-line block ×4, first 2 shown]
	v_cndmask_b32_e64 v11, 0, v91, s0
	v_cmp_gt_i32_e64 s0, s13, v12
	v_dot2c_f32_f16 v53, v3, v9
	v_dot2c_f32_f16 v63, v3, v84
	v_dot2c_f32_f16 v58, v3, v85
	v_dot2c_f32_f16 v31, v3, v86
	v_dot2c_f32_f16 v32, v3, v87
	v_add_f32_e32 v1, v65, v1
	v_add_f32_e32 v0, v66, v0
	v_cvt_f32_f16_e32 v3, v2
	s_and_b32 s2, s0, vcc_lo
	v_dot2c_f32_f16 v60, v4, v9
	v_dot2c_f32_f16 v55, v5, v9
	;; [unrolled: 1-line block ×4, first 2 shown]
	v_max_f32_e32 v9, 0, v1
	v_max_f32_e32 v13, 0, v0
	v_add_f32_e32 v0, v75, v3
	s_waitcnt vmcnt(13)
	v_cndmask_b32_e64 v1, 0, v92, s2
	v_or_b32_e32 v66, 2, v83
	s_and_b32 s0, s0, s1
	v_cvt_f32_f16_sdwa v2, v2 dst_sel:DWORD dst_unused:UNUSED_PAD src0_sel:WORD_1
	v_max_f32_e32 v65, 0, v0
	v_cvt_f32_f16_e32 v0, v1
	v_cvt_f32_f16_sdwa v1, v1 dst_sel:DWORD dst_unused:UNUSED_PAD src0_sel:WORD_1
	v_dot2c_f32_f16 v74, v4, v84
	v_dot2c_f32_f16 v70, v4, v85
	s_waitcnt vmcnt(12)
	v_cndmask_b32_e64 v3, 0, v94, s0
	v_cndmask_b32_e64 v15, 0, v95, s0
	v_cmp_gt_i32_e64 s0, s13, v66
	v_add_f32_e32 v0, v61, v0
	v_add_f32_e32 v1, v62, v1
	v_dot2c_f32_f16 v18, v4, v86
	v_dot2c_f32_f16 v19, v4, v87
	v_cvt_f32_f16_e32 v4, v3
	v_add_f32_e32 v2, v72, v2
	v_cndmask_b32_e64 v14, 0, v93, s2
	s_and_b32 s2, s0, vcc_lo
	v_max_f32_e32 v62, 0, v0
	v_max_f32_e32 v72, 0, v1
	v_cvt_f32_f16_sdwa v0, v3 dst_sel:DWORD dst_unused:UNUSED_PAD src0_sel:WORD_1
	s_waitcnt vmcnt(11)
	v_cndmask_b32_e64 v1, 0, v96, s2
	s_and_b32 s0, s0, s1
	v_or_b32_e32 v81, 3, v83
	v_add_f32_e32 v4, v73, v4
	v_max_f32_e32 v61, 0, v2
	s_waitcnt vmcnt(10)
	v_cndmask_b32_e64 v2, 0, v98, s0
	v_cndmask_b32_e64 v80, 0, v99, s0
	v_add_f32_e32 v0, v69, v0
	v_cvt_f32_f16_e32 v3, v1
	v_cmp_gt_i32_e64 s0, s13, v81
	v_max_f32_e32 v73, 0, v4
	v_cvt_f32_f16_sdwa v1, v1 dst_sel:DWORD dst_unused:UNUSED_PAD src0_sel:WORD_1
	v_cvt_f32_f16_e32 v4, v2
	v_cndmask_b32_e64 v75, 0, v97, s2
	v_max_f32_e32 v69, 0, v0
	v_add_f32_e32 v0, v56, v3
	s_and_b32 s2, s0, vcc_lo
	v_add_f32_e32 v1, v57, v1
	v_add_f32_e32 v3, v68, v4
	s_waitcnt vmcnt(8)
	v_cndmask_b32_e64 v4, 0, v100, s2
	v_max_f32_e32 v57, 0, v0
	s_and_b32 s0, s0, s1
	v_or_b32_e32 v0, 64, v83
	v_dot2c_f32_f16 v71, v5, v84
	v_dot2c_f32_f16 v78, v6, v84
	;; [unrolled: 1-line block ×3, first 2 shown]
	v_max_f32_e32 v68, 0, v1
	v_max_f32_e32 v84, 0, v3
	v_cvt_f32_f16_sdwa v1, v2 dst_sel:DWORD dst_unused:UNUSED_PAD src0_sel:WORD_1
	v_cvt_f32_f16_e32 v2, v4
	v_cvt_f32_f16_sdwa v3, v4 dst_sel:DWORD dst_unused:UNUSED_PAD src0_sel:WORD_1
	v_cndmask_b32_e64 v4, 0, v102, s0
	v_dot2c_f32_f16 v67, v5, v85
	v_dot2c_f32_f16 v79, v6, v85
	;; [unrolled: 1-line block ×3, first 2 shown]
	v_cndmask_b32_e64 v85, 0, v103, s0
	v_cmp_gt_i32_e64 s0, s13, v0
	v_dot2c_f32_f16 v22, v5, v86
	v_dot2c_f32_f16 v23, v5, v87
	v_cvt_f32_f16_e32 v5, v4
	v_cvt_f32_f16_sdwa v4, v4 dst_sel:DWORD dst_unused:UNUSED_PAD src0_sel:WORD_1
	v_add_f32_e32 v1, v64, v1
	v_add_f32_e32 v2, v52, v2
	v_cndmask_b32_e64 v56, 0, v101, s2
	s_and_b32 s2, s0, vcc_lo
	s_and_b32 s0, s0, s1
	v_dot2c_f32_f16 v41, v7, v86
	v_dot2c_f32_f16 v24, v7, v87
	s_waitcnt vmcnt(7)
	v_cndmask_b32_e64 v7, 0, v106, s0
	v_add_f32_e32 v58, v58, v4
	v_or_b32_e32 v4, 0x41, v83
	v_add_f32_e32 v3, v53, v3
	v_max_f32_e32 v52, 0, v1
	v_max_f32_e32 v53, 0, v2
	v_add_f32_e32 v1, v63, v5
	s_waitcnt vmcnt(6)
	v_cndmask_b32_e64 v2, 0, v104, s2
	v_dot2c_f32_f16 v33, v6, v86
	v_dot2c_f32_f16 v34, v6, v87
	v_cndmask_b32_e64 v5, 0, v107, s0
	v_cvt_f32_f16_e32 v6, v7
	v_cmp_gt_i32_e64 s0, s13, v4
	v_cvt_f32_f16_sdwa v7, v7 dst_sel:DWORD dst_unused:UNUSED_PAD src0_sel:WORD_1
	v_max_f32_e32 v63, 0, v1
	v_cvt_f32_f16_e32 v1, v2
	v_cvt_f32_f16_sdwa v2, v2 dst_sel:DWORD dst_unused:UNUSED_PAD src0_sel:WORD_1
	v_max_f32_e32 v64, 0, v3
	v_cndmask_b32_e64 v3, 0, v105, s2
	s_and_b32 s2, s0, vcc_lo
	v_add_f32_e32 v7, v70, v7
	v_or_b32_e32 v70, 0x42, v83
	v_add_f32_e32 v2, v60, v2
	s_waitcnt vmcnt(5)
	v_cndmask_b32_e64 v60, 0, v108, s2
	s_and_b32 s0, s0, s1
	v_add_f32_e32 v6, v74, v6
	s_waitcnt vmcnt(4)
	v_cndmask_b32_e64 v74, 0, v111, s0
	v_cndmask_b32_e64 v86, 0, v110, s0
	v_cmp_gt_i32_e64 s0, s13, v70
	v_cvt_f32_f16_e32 v87, v60
	v_cvt_f32_f16_sdwa v60, v60 dst_sel:DWORD dst_unused:UNUSED_PAD src0_sel:WORD_1
	v_add_f32_e32 v1, v59, v1
	v_cndmask_b32_e64 v59, 0, v109, s2
	s_and_b32 s2, s0, vcc_lo
	v_cvt_f32_f16_e32 v88, v86
	v_max_f32_e32 v89, 0, v7
	v_add_f32_e32 v7, v54, v87
	v_add_f32_e32 v54, v55, v60
	v_cvt_f32_f16_sdwa v60, v86 dst_sel:DWORD dst_unused:UNUSED_PAD src0_sel:WORD_1
	s_waitcnt vmcnt(3)
	v_cndmask_b32_e64 v86, 0, v112, s2
	s_and_b32 s0, s0, s1
	v_max_f32_e32 v87, 0, v7
	v_add_f32_e32 v55, v71, v88
	v_add_f32_e32 v7, v67, v60
	v_cvt_f32_f16_e32 v60, v86
	v_cvt_f32_f16_sdwa v67, v86 dst_sel:DWORD dst_unused:UNUSED_PAD src0_sel:WORD_1
	v_or_b32_e32 v86, 0x43, v83
	s_waitcnt vmcnt(2)
	v_cndmask_b32_e64 v88, 0, v115, s0
	v_cndmask_b32_e64 v90, 0, v114, s0
	v_max_f32_e32 v91, 0, v7
	v_add_f32_e32 v7, v50, v60
	v_cmp_gt_i32_e64 s0, s13, v86
	v_add_f32_e32 v50, v51, v67
	v_cvt_f32_f16_e32 v51, v90
	v_cvt_f32_f16_sdwa v60, v90 dst_sel:DWORD dst_unused:UNUSED_PAD src0_sel:WORD_1
	v_max_f32_e32 v92, 0, v7
	s_and_b32 vcc_lo, s0, vcc_lo
	v_cvt_f16_f32_e32 v9, v9
	v_add_f32_e32 v7, v78, v51
	v_add_f32_e32 v51, v79, v60
	s_waitcnt vmcnt(0)
	v_cndmask_b32_e32 v90, 0, v116, vcc_lo
	v_cndmask_b32_e32 v67, 0, v117, vcc_lo
	s_and_b32 vcc_lo, s0, s1
	v_max_f32_e32 v93, 0, v7
	v_cndmask_b32_e32 v79, 0, v118, vcc_lo
	v_cvt_f32_f16_e32 v60, v90
	v_cvt_f32_f16_sdwa v90, v90 dst_sel:DWORD dst_unused:UNUSED_PAD src0_sel:WORD_1
	v_cvt_f16_f32_e32 v13, v13
	v_cndmask_b32_e32 v78, 0, v119, vcc_lo
	v_cmp_gt_i32_e32 vcc_lo, s12, v82
	v_add_f32_e32 v7, v48, v60
	v_cvt_f32_f16_e32 v48, v79
	v_cvt_f32_f16_sdwa v60, v8 dst_sel:DWORD dst_unused:UNUSED_PAD src0_sel:WORD_1
	v_cvt_f32_f16_e32 v8, v8
	v_add_f32_e32 v49, v49, v90
	v_max_f32_e32 v90, 0, v7
	v_add_f32_e32 v7, v77, v48
	v_add_f32_e32 v47, v47, v60
	;; [unrolled: 1-line block ×3, first 2 shown]
	v_max_f32_e32 v48, 0, v49
	v_cmp_gt_i32_e64 s1, s9, v83
	v_max_f32_e32 v49, 0, v7
	v_mul_lo_u32 v7, v83, s10
	v_max_f32_e32 v8, 0, v8
	v_max_f32_e32 v47, 0, v47
	s_and_b32 s0, s1, vcc_lo
	v_cndmask_b32_e64 v71, 0, v113, s2
	s_lshl_b32 s2, s11, 6
	v_cvt_f16_f32_e32 v60, v8
	v_cvt_f16_f32_e32 v47, v47
	v_mad_u64_u32 v[7:8], null, v82, s11, v[7:8]
	v_pack_b32_f16 v8, v9, v13
	v_cvt_f32_f16_sdwa v13, v11 dst_sel:DWORD dst_unused:UNUSED_PAD src0_sel:WORD_1
	v_cvt_f32_f16_e32 v11, v11
	v_pack_b32_f16 v9, v60, v47
	v_cvt_f16_f32_e32 v47, v61
	v_max_f32_e32 v58, 0, v58
	v_add_f32_e32 v13, v45, v13
	v_add_f32_e32 v11, v44, v11
	v_cndmask_b32_e64 v44, 0x80000000, 0, s0
	v_cmp_gt_i32_e64 s0, s12, v10
	v_cvt_f16_f32_e32 v10, v65
	v_max_f32_e32 v13, 0, v13
	v_max_f32_e32 v11, 0, v11
	v_add_nc_u32_e32 v45, s2, v7
	s_and_b32 s1, s1, s0
	v_lshl_add_u32 v44, v7, 1, v44
	v_cvt_f16_f32_e32 v13, v13
	v_cvt_f16_f32_e32 v11, v11
	v_cndmask_b32_e64 v60, 0x80000000, 0, s1
	v_pack_b32_f16 v10, v10, v47
	v_cvt_f32_f16_sdwa v47, v15 dst_sel:DWORD dst_unused:UNUSED_PAD src0_sel:WORD_1
	v_cvt_f32_f16_e32 v15, v15
	v_pack_b32_f16 v11, v11, v13
	v_lshl_add_u32 v13, v45, 1, v60
	buffer_store_dwordx2 v[8:9], v44, s[24:27], 0 offen
	buffer_store_dwordx2 v[10:11], v13, s[24:27], 0 offen
	v_add_f32_e32 v43, v43, v47
	v_add_f32_e32 v8, v42, v15
	v_cmp_gt_i32_e64 s1, s9, v12
	v_cvt_f32_f16_sdwa v12, v14 dst_sel:DWORD dst_unused:UNUSED_PAD src0_sel:WORD_1
	v_cvt_f32_f16_e32 v13, v14
	v_max_f32_e32 v9, 0, v43
	v_max_f32_e32 v8, 0, v8
	s_and_b32 s3, s1, s0
	v_add_nc_u32_e32 v15, s10, v45
	v_cvt_f16_f32_e32 v10, v73
	v_cvt_f16_f32_e32 v11, v69
	v_cvt_f16_f32_e32 v9, v9
	v_cvt_f16_f32_e32 v14, v8
	v_cndmask_b32_e64 v42, 0x80000000, 0, s3
	v_add_f32_e32 v12, v40, v12
	v_add_f32_e32 v13, v39, v13
	v_pack_b32_f16 v8, v10, v11
	v_pack_b32_f16 v9, v14, v9
	v_lshl_add_u32 v14, v15, 1, v42
	v_max_f32_e32 v10, 0, v12
	v_max_f32_e32 v11, 0, v13
	v_cvt_f16_f32_e32 v12, v62
	v_cvt_f16_f32_e32 v13, v72
	v_cvt_f32_f16_sdwa v40, v75 dst_sel:DWORD dst_unused:UNUSED_PAD src0_sel:WORD_1
	v_cvt_f32_f16_e32 v42, v75
	v_cvt_f16_f32_e32 v39, v10
	s_and_b32 s1, s1, vcc_lo
	v_pack_b32_f16 v10, v12, v13
	v_add_f32_e32 v12, v37, v40
	v_add_f32_e32 v13, v36, v42
	v_cndmask_b32_e64 v43, 0x80000000, 0, s1
	v_cmp_gt_i32_e64 s1, s9, v66
	v_add_nc_u32_e32 v7, s10, v7
	v_cvt_f16_f32_e32 v11, v11
	v_max_f32_e32 v12, 0, v12
	v_max_f32_e32 v13, 0, v13
	s_and_b32 s3, s1, vcc_lo
	v_lshl_add_u32 v36, v7, 1, v43
	v_pack_b32_f16 v11, v11, v39
	v_cvt_f16_f32_e32 v37, v57
	v_cvt_f16_f32_e32 v39, v68
	v_cvt_f32_f16_sdwa v43, v80 dst_sel:DWORD dst_unused:UNUSED_PAD src0_sel:WORD_1
	v_add_nc_u32_e32 v7, s10, v7
	v_cvt_f16_f32_e32 v40, v12
	v_cvt_f16_f32_e32 v13, v13
	v_cndmask_b32_e64 v42, 0x80000000, 0, s3
	v_pack_b32_f16 v12, v37, v39
	v_cvt_f32_f16_e32 v37, v80
	v_add_f32_e32 v38, v38, v43
	v_pack_b32_f16 v13, v13, v40
	v_lshl_add_u32 v7, v7, 1, v42
	buffer_store_dwordx2 v[8:9], v14, s[24:27], 0 offen
	v_add_f32_e32 v8, v35, v37
	buffer_store_dwordx2 v[10:11], v36, s[24:27], 0 offen
	buffer_store_dwordx2 v[12:13], v7, s[24:27], 0 offen
	v_max_f32_e32 v7, 0, v38
	v_cvt_f16_f32_e32 v9, v84
	v_max_f32_e32 v8, 0, v8
	v_cvt_f16_f32_e32 v10, v52
	v_cvt_f32_f16_e32 v12, v85
	v_cvt_f16_f32_e32 v11, v7
	v_cvt_f32_f16_sdwa v7, v85 dst_sel:DWORD dst_unused:UNUSED_PAD src0_sel:WORD_1
	v_add_nc_u32_e32 v13, s10, v15
	v_cvt_f16_f32_e32 v8, v8
	s_and_b32 s1, s1, s0
	v_cvt_f32_f16_sdwa v46, v79 dst_sel:DWORD dst_unused:UNUSED_PAD src0_sel:WORD_1
	v_add_f32_e32 v15, v32, v7
	v_pack_b32_f16 v7, v9, v10
	v_add_f32_e32 v9, v31, v12
	v_pack_b32_f16 v8, v8, v11
	v_cvt_f16_f32_e32 v11, v63
	v_cvt_f16_f32_e32 v12, v58
	v_cvt_f32_f16_sdwa v31, v56 dst_sel:DWORD dst_unused:UNUSED_PAD src0_sel:WORD_1
	v_max_f32_e32 v9, 0, v9
	v_cvt_f32_f16_e32 v32, v56
	v_cndmask_b32_e64 v14, 0x80000000, 0, s1
	v_max_f32_e32 v10, 0, v15
	v_cmp_gt_i32_e64 s1, s9, v81
	v_cvt_f16_f32_e32 v35, v9
	v_pack_b32_f16 v9, v11, v12
	v_add_f32_e32 v11, v28, v31
	v_add_f32_e32 v12, v27, v32
	v_lshl_add_u32 v14, v13, 1, v14
	v_add_nc_u32_e32 v15, s10, v13
	v_cvt_f16_f32_e32 v10, v10
	v_max_f32_e32 v11, 0, v11
	v_max_f32_e32 v12, 0, v12
	v_cvt_f16_f32_e32 v31, v53
	v_cvt_f16_f32_e32 v32, v64
	s_and_b32 s3, s1, s0
	s_and_b32 s1, s1, vcc_lo
	v_pack_b32_f16 v10, v35, v10
	v_cndmask_b32_e64 v27, 0x80000000, 0, s3
	v_subrev_nc_u32_e32 v28, s2, v15
	v_cvt_f16_f32_e32 v35, v11
	v_cvt_f16_f32_e32 v12, v12
	v_cndmask_b32_e64 v36, 0x80000000, 0, s1
	v_pack_b32_f16 v11, v31, v32
	v_cvt_f32_f16_sdwa v31, v67 dst_sel:DWORD dst_unused:UNUSED_PAD src0_sel:WORD_1
	buffer_store_dwordx2 v[7:8], v14, s[24:27], 0 offen
	v_cvt_f32_f16_e32 v7, v67
	v_lshl_add_u32 v27, v15, 1, v27
	v_pack_b32_f16 v12, v12, v35
	v_lshl_add_u32 v32, v28, 1, v36
	v_add_f32_e32 v8, v30, v31
	v_add_f32_e32 v7, v29, v7
	v_cmp_gt_i32_e64 s1, s9, v86
	v_add_f32_e32 v46, v76, v46
	buffer_store_dwordx2 v[9:10], v27, s[24:27], 0 offen
	buffer_store_dwordx2 v[11:12], v32, s[24:27], 0 offen
	v_max_f32_e32 v8, 0, v8
	v_max_f32_e32 v7, 0, v7
	v_cvt_f32_f16_sdwa v12, v78 dst_sel:DWORD dst_unused:UNUSED_PAD src0_sel:WORD_1
	v_cvt_f32_f16_e32 v14, v78
	s_lshl_b32 s3, s10, 6
	s_and_b32 s4, s1, vcc_lo
	v_max_f32_e32 v46, 0, v46
	v_add_nc_u32_e32 v9, s3, v28
	v_cvt_f16_f32_e32 v10, v90
	v_cvt_f16_f32_e32 v11, v48
	;; [unrolled: 1-line block ×4, first 2 shown]
	v_cndmask_b32_e64 v28, 0x80000000, 0, s4
	v_add_f32_e32 v12, v24, v12
	v_add_f32_e32 v14, v41, v14
	v_pack_b32_f16 v7, v10, v11
	v_pack_b32_f16 v8, v27, v8
	v_lshl_add_u32 v24, v9, 1, v28
	v_max_f32_e32 v9, 0, v12
	v_max_f32_e32 v10, 0, v14
	v_cvt_f16_f32_e32 v12, v49
	v_cvt_f16_f32_e32 v14, v46
	v_cvt_f32_f16_sdwa v27, v88 dst_sel:DWORD dst_unused:UNUSED_PAD src0_sel:WORD_1
	v_cvt_f32_f16_e32 v28, v88
	s_and_b32 s1, s1, s0
	v_max_f32_e32 v51, 0, v51
	v_add_nc_u32_e32 v11, s3, v15
	v_cvt_f16_f32_e32 v15, v9
	v_cvt_f16_f32_e32 v10, v10
	v_cndmask_b32_e64 v29, 0x80000000, 0, s1
	v_pack_b32_f16 v9, v12, v14
	v_add_f32_e32 v12, v34, v27
	v_add_f32_e32 v14, v33, v28
	v_cmp_ge_i32_e64 s1, s9, v86
	v_pack_b32_f16 v10, v10, v15
	v_lshl_add_u32 v15, v11, 1, v29
	v_max_f32_e32 v11, 0, v12
	v_max_f32_e32 v12, 0, v14
	v_cvt_f16_f32_e32 v14, v93
	v_cvt_f16_f32_e32 v27, v51
	s_and_b32 s1, s1, s0
	v_cvt_f16_f32_e32 v28, v11
	v_add_nc_u32_e32 v13, s3, v13
	v_cvt_f16_f32_e32 v12, v12
	v_pack_b32_f16 v11, v14, v27
	v_cvt_f32_f16_sdwa v14, v71 dst_sel:DWORD dst_unused:UNUSED_PAD src0_sel:WORD_1
	v_cndmask_b32_e64 v29, 0x80000000, 0, s1
	v_max_f32_e32 v50, 0, v50
	buffer_store_dwordx2 v[7:8], v24, s[24:27], 0 offen
	v_pack_b32_f16 v12, v12, v28
	v_add_f32_e32 v7, v26, v14
	v_lshl_add_u32 v28, v13, 1, v29
	v_cmp_gt_i32_e64 s1, s9, v70
	buffer_store_dwordx2 v[9:10], v15, s[24:27], 0 offen
	buffer_store_dwordx2 v[11:12], v28, s[24:27], 0 offen
	v_subrev_nc_u32_e32 v9, s2, v13
	v_max_f32_e32 v7, 0, v7
	v_cvt_f16_f32_e32 v10, v92
	v_cvt_f16_f32_e32 v11, v50
	v_cvt_f32_f16_e32 v13, v59
	v_cvt_f32_f16_sdwa v14, v59 dst_sel:DWORD dst_unused:UNUSED_PAD src0_sel:WORD_1
	s_and_b32 s1, s1, vcc_lo
	v_cvt_f32_f16_e32 v27, v71
	v_cvt_f16_f32_e32 v12, v7
	v_cndmask_b32_e64 v15, 0x80000000, 0, s1
	v_pack_b32_f16 v7, v10, v11
	v_add_f32_e32 v10, v21, v14
	v_add_f32_e32 v11, v20, v13
	;; [unrolled: 1-line block ×3, first 2 shown]
	v_lshl_add_u32 v13, v9, 1, v15
	v_cvt_f32_f16_e32 v14, v74
	v_max_f32_e32 v10, 0, v10
	v_max_f32_e32 v11, 0, v11
	v_cvt_f32_f16_sdwa v15, v74 dst_sel:DWORD dst_unused:UNUSED_PAD src0_sel:WORD_1
	v_max_f32_e32 v8, 0, v8
	v_add_f32_e32 v14, v22, v14
	v_cvt_f16_f32_e32 v10, v10
	v_cvt_f16_f32_e32 v11, v11
	v_add_f32_e32 v15, v23, v15
	v_cmp_ge_i32_e64 s1, s9, v70
	v_max_f32_e32 v54, 0, v54
	v_cvt_f16_f32_e32 v8, v8
	v_pack_b32_f16 v10, v11, v10
	v_max_f32_e32 v11, 0, v14
	v_max_f32_e32 v14, 0, v15
	s_and_b32 s1, s1, vcc_lo
	v_max_f32_e32 v55, 0, v55
	v_pack_b32_f16 v8, v8, v12
	v_subrev_nc_u32_e32 v12, s10, v9
	v_cvt_f16_f32_e32 v9, v87
	v_cvt_f16_f32_e32 v20, v54
	v_cndmask_b32_e64 v15, 0x80000000, 0, s1
	v_cvt_f16_f32_e32 v14, v14
	v_cvt_f16_f32_e32 v22, v11
	v_max_f32_e32 v6, 0, v6
	v_pack_b32_f16 v9, v9, v20
	v_cvt_f16_f32_e32 v20, v55
	v_cvt_f16_f32_e32 v21, v91
	v_lshl_add_u32 v15, v12, 1, v15
	v_add_nc_u32_e32 v23, s2, v12
	v_pack_b32_f16 v12, v22, v14
	v_cvt_f32_f16_e32 v14, v5
	v_cvt_f32_f16_sdwa v5, v5 dst_sel:DWORD dst_unused:UNUSED_PAD src0_sel:WORD_1
	v_cmp_gt_i32_e64 s1, s9, v4
	v_pack_b32_f16 v11, v20, v21
	v_cvt_f16_f32_e32 v6, v6
	v_cvt_f16_f32_e32 v21, v89
	v_add_f32_e32 v19, v19, v5
	v_add_f32_e32 v14, v18, v14
	s_and_b32 s1, s1, s0
	v_max_f32_e32 v1, 0, v1
	v_pack_b32_f16 v5, v6, v21
	v_max_f32_e32 v6, 0, v19
	v_max_f32_e32 v14, 0, v14
	v_cvt_f32_f16_sdwa v19, v3 dst_sel:DWORD dst_unused:UNUSED_PAD src0_sel:WORD_1
	v_cvt_f32_f16_e32 v3, v3
	v_cndmask_b32_e64 v20, 0x80000000, 0, s1
	v_cmp_ge_i32_e64 s1, s9, v4
	v_cvt_f16_f32_e32 v4, v6
	v_cvt_f16_f32_e32 v6, v14
	v_add_f32_e32 v14, v17, v19
	v_add_f32_e32 v3, v16, v3
	s_and_b32 s0, s1, s0
	v_max_f32_e32 v2, 0, v2
	v_cndmask_b32_e64 v16, 0x80000000, 0, s0
	v_cmp_gt_i32_e64 s0, s9, v0
	v_lshl_add_u32 v18, v23, 1, v20
	v_subrev_nc_u32_e32 v20, s10, v23
	v_max_f32_e32 v14, 0, v14
	v_max_f32_e32 v3, 0, v3
	s_and_b32 s0, s0, vcc_lo
	v_cvt_f16_f32_e32 v0, v1
	v_subrev_nc_u32_e32 v17, s2, v20
	v_cvt_f16_f32_e32 v1, v2
	v_cvt_f16_f32_e32 v2, v14
	;; [unrolled: 1-line block ×3, first 2 shown]
	v_cndmask_b32_e64 v14, 0x80000000, 0, s0
	v_pack_b32_f16 v6, v6, v4
	v_lshl_add_u32 v4, v20, 1, v16
	v_pack_b32_f16 v0, v0, v1
	v_pack_b32_f16 v1, v3, v2
	v_lshl_add_u32 v2, v17, 1, v14
	buffer_store_dwordx2 v[7:8], v13, s[24:27], 0 offen
	buffer_store_dwordx2 v[9:10], v15, s[24:27], 0 offen
	;; [unrolled: 1-line block ×5, first 2 shown]
	s_endpgm
	.section	.rodata,"a",@progbits
	.p2align	6, 0x0
	.amdhsa_kernel _ZN2ck16tensor_operation6device12_GLOBAL__N_137kernel_grouped_conv_fwd_dl_multiple_dINS_32GridwiseGemmDlMultipleD_km_kn_mnILi256EDF16_fNS_5TupleIJDF16_EEEDF16_NS0_12element_wise11PassThroughES8_NS7_7AddReluELNS_25InMemoryDataOperationEnumE0ENS_16TensorDescriptorINS5_IJNS_5EmbedINS5_IJiiiiiEEESD_Lb0EEENS_11PassThroughIiEENS_3PadIiiiLb0EEESI_SI_SG_SG_NSC_INS5_IJiiEEESJ_Lb0EEESK_SK_SG_NS_23Merge_v2_magic_divisionINS5_IJiiiiEEEEESN_NS_8RightPadIiiLb0EEESP_NS_7UnMergeISJ_Lb0EEESG_EEENS5_IJNS_8SequenceIJLi0EEEENST_IJLi1EEEENST_IJLi2EEEENST_IJLi3EEEENST_IJLi4EEEENST_IJLi5EEEENST_IJLi6EEEENST_IJLi7EEEENST_IJLi8EEEENST_IJLi9EEEENST_IJLi10EEEENST_IJLi11ELi13ELi15ELi17EEEENST_IJLi12ELi14ELi16ELi18EEEENST_IJLi19EEEENST_IJLi20EEEENST_IJLi22EEEENST_IJLi21EEEEEEENS5_IJNST_IJLi1ELi2ELi3ELi4ELi5EEEES10_S11_S12_S13_S14_NST_IJLi11EEEENST_IJLi12ELi13EEEENST_IJLi14ELi15EEEENST_IJLi16ELi17EEEENST_IJLi18EEEES17_S18_S1A_S19_NST_IJLi23ELi24EEEENST_IJLi25EEEEEEENST_IJLi23ELi25ELi24EEEElEENSB_INS5_IJSR_SP_SP_SR_SG_EEENS5_IJSU_SV_SW_SY_SX_EEENS5_IJNST_IJLi1ELi2EEEESX_SY_NST_IJLi5ELi6EEEES11_EEENST_IJLi5ELi7ELi6EEEElEENSB_INS5_IJSK_SP_SP_EEENS5_IJSU_SV_SW_EEENS5_IJS1P_SX_SY_EEENST_IJLi3ELi4EEEElEELi128ELi128ELi16ELi2ELi4ELi4ELi1ENST_IJLi8ELi2EEEES1Z_NST_IJLi8ELi1ELi1ELi2EEEENST_IJLi2ELi1ELi128ELi1EEEENST_IJLi1ELi2ELi0ELi3EEEES22_NST_IJLi4ELi1ELi1ELi2EEEES22_NST_IJLi1ELi1ELi1ELi2EEEES20_S21_S22_S22_S23_S22_S24_NST_IJLi0ELi1ELi2ELi3ELi4ELi5EEEELi5ELi4EEEDF16_NS5_IJPKDF16_EEEDF16_S8_S8_S9_NSB_INS5_IJSE_SG_SI_SI_SI_SG_SG_SK_SK_SK_SG_SN_SN_SP_SP_SR_SG_SG_NSQ_INS5_IJiNS_17integral_constantIiLi128EEEEEELb0EEENSF_INS2A_IiLi2EEEEEEEENS5_IJSU_SV_SW_SX_SY_SZ_S10_S11_S12_S13_S14_S15_S16_S17_S18_S19_S1A_NST_IJLi23EEEES1J_NST_IJLi24EEEEEEENS5_IJS1C_S10_S11_S12_S13_S14_S1D_S1E_S1F_S1G_S1H_S17_S18_S1A_S19_S1I_S1J_NST_IJLi26EEEENST_IJLi27ELi28EEEENST_IJLi29EEEEEEENST_IJLi26ELi27ELi28ELi29EEEElEENSB_INS5_IJSR_SP_SP_SR_SG_SG_S2D_S2F_EEENS5_IJSU_SV_SW_SY_SX_SZ_S11_S10_EEENS5_IJS1P_SX_SY_S1Q_S11_S12_NST_IJLi9ELi10EEEES1D_EEENST_IJLi8ELi9ELi10ELi11EEEElEENS5_IJNSB_INS5_IJSK_SP_SP_NSQ_INS5_IJiS2E_NS2A_IiLi64EEEEEELb0EEES2Y_EEENS5_IJSU_SV_SW_SX_SY_EEENS5_IJS1P_SX_SY_NST_IJLi5ELi6ELi7EEEENST_IJLi8ELi9ELi10EEEEEEENST_IJLi5ELi6ELi7ELi8ELi9ELi10EEEElEEEEES35_NS_31BlockToCTileMap_M00_N00_M01_N01ILi128ELi128ES1Y_Lb0EEENS1_30ComputePtrOffsetOfStridedBatchILi1ELi1ELi1EvEELb0ELb0EEEvPKT0_S3D_T1_PT2_T3_T4_T5_iT6_T7_T8_T9_T10_T11_
		.amdhsa_group_segment_fixed_size 32768
		.amdhsa_private_segment_fixed_size 0
		.amdhsa_kernarg_size 1024
		.amdhsa_user_sgpr_count 6
		.amdhsa_user_sgpr_private_segment_buffer 1
		.amdhsa_user_sgpr_dispatch_ptr 0
		.amdhsa_user_sgpr_queue_ptr 0
		.amdhsa_user_sgpr_kernarg_segment_ptr 1
		.amdhsa_user_sgpr_dispatch_id 0
		.amdhsa_user_sgpr_flat_scratch_init 0
		.amdhsa_user_sgpr_private_segment_size 0
		.amdhsa_wavefront_size32 1
		.amdhsa_uses_dynamic_stack 0
		.amdhsa_system_sgpr_private_segment_wavefront_offset 0
		.amdhsa_system_sgpr_workgroup_id_x 1
		.amdhsa_system_sgpr_workgroup_id_y 0
		.amdhsa_system_sgpr_workgroup_id_z 0
		.amdhsa_system_sgpr_workgroup_info 0
		.amdhsa_system_vgpr_workitem_id 0
		.amdhsa_next_free_vgpr 124
		.amdhsa_next_free_sgpr 76
		.amdhsa_reserve_vcc 1
		.amdhsa_reserve_flat_scratch 0
		.amdhsa_float_round_mode_32 0
		.amdhsa_float_round_mode_16_64 0
		.amdhsa_float_denorm_mode_32 3
		.amdhsa_float_denorm_mode_16_64 3
		.amdhsa_dx10_clamp 1
		.amdhsa_ieee_mode 1
		.amdhsa_fp16_overflow 0
		.amdhsa_workgroup_processor_mode 1
		.amdhsa_memory_ordered 1
		.amdhsa_forward_progress 1
		.amdhsa_shared_vgpr_count 0
		.amdhsa_exception_fp_ieee_invalid_op 0
		.amdhsa_exception_fp_denorm_src 0
		.amdhsa_exception_fp_ieee_div_zero 0
		.amdhsa_exception_fp_ieee_overflow 0
		.amdhsa_exception_fp_ieee_underflow 0
		.amdhsa_exception_fp_ieee_inexact 0
		.amdhsa_exception_int_div_zero 0
	.end_amdhsa_kernel
	.section	.text._ZN2ck16tensor_operation6device12_GLOBAL__N_137kernel_grouped_conv_fwd_dl_multiple_dINS_32GridwiseGemmDlMultipleD_km_kn_mnILi256EDF16_fNS_5TupleIJDF16_EEEDF16_NS0_12element_wise11PassThroughES8_NS7_7AddReluELNS_25InMemoryDataOperationEnumE0ENS_16TensorDescriptorINS5_IJNS_5EmbedINS5_IJiiiiiEEESD_Lb0EEENS_11PassThroughIiEENS_3PadIiiiLb0EEESI_SI_SG_SG_NSC_INS5_IJiiEEESJ_Lb0EEESK_SK_SG_NS_23Merge_v2_magic_divisionINS5_IJiiiiEEEEESN_NS_8RightPadIiiLb0EEESP_NS_7UnMergeISJ_Lb0EEESG_EEENS5_IJNS_8SequenceIJLi0EEEENST_IJLi1EEEENST_IJLi2EEEENST_IJLi3EEEENST_IJLi4EEEENST_IJLi5EEEENST_IJLi6EEEENST_IJLi7EEEENST_IJLi8EEEENST_IJLi9EEEENST_IJLi10EEEENST_IJLi11ELi13ELi15ELi17EEEENST_IJLi12ELi14ELi16ELi18EEEENST_IJLi19EEEENST_IJLi20EEEENST_IJLi22EEEENST_IJLi21EEEEEEENS5_IJNST_IJLi1ELi2ELi3ELi4ELi5EEEES10_S11_S12_S13_S14_NST_IJLi11EEEENST_IJLi12ELi13EEEENST_IJLi14ELi15EEEENST_IJLi16ELi17EEEENST_IJLi18EEEES17_S18_S1A_S19_NST_IJLi23ELi24EEEENST_IJLi25EEEEEEENST_IJLi23ELi25ELi24EEEElEENSB_INS5_IJSR_SP_SP_SR_SG_EEENS5_IJSU_SV_SW_SY_SX_EEENS5_IJNST_IJLi1ELi2EEEESX_SY_NST_IJLi5ELi6EEEES11_EEENST_IJLi5ELi7ELi6EEEElEENSB_INS5_IJSK_SP_SP_EEENS5_IJSU_SV_SW_EEENS5_IJS1P_SX_SY_EEENST_IJLi3ELi4EEEElEELi128ELi128ELi16ELi2ELi4ELi4ELi1ENST_IJLi8ELi2EEEES1Z_NST_IJLi8ELi1ELi1ELi2EEEENST_IJLi2ELi1ELi128ELi1EEEENST_IJLi1ELi2ELi0ELi3EEEES22_NST_IJLi4ELi1ELi1ELi2EEEES22_NST_IJLi1ELi1ELi1ELi2EEEES20_S21_S22_S22_S23_S22_S24_NST_IJLi0ELi1ELi2ELi3ELi4ELi5EEEELi5ELi4EEEDF16_NS5_IJPKDF16_EEEDF16_S8_S8_S9_NSB_INS5_IJSE_SG_SI_SI_SI_SG_SG_SK_SK_SK_SG_SN_SN_SP_SP_SR_SG_SG_NSQ_INS5_IJiNS_17integral_constantIiLi128EEEEEELb0EEENSF_INS2A_IiLi2EEEEEEEENS5_IJSU_SV_SW_SX_SY_SZ_S10_S11_S12_S13_S14_S15_S16_S17_S18_S19_S1A_NST_IJLi23EEEES1J_NST_IJLi24EEEEEEENS5_IJS1C_S10_S11_S12_S13_S14_S1D_S1E_S1F_S1G_S1H_S17_S18_S1A_S19_S1I_S1J_NST_IJLi26EEEENST_IJLi27ELi28EEEENST_IJLi29EEEEEEENST_IJLi26ELi27ELi28ELi29EEEElEENSB_INS5_IJSR_SP_SP_SR_SG_SG_S2D_S2F_EEENS5_IJSU_SV_SW_SY_SX_SZ_S11_S10_EEENS5_IJS1P_SX_SY_S1Q_S11_S12_NST_IJLi9ELi10EEEES1D_EEENST_IJLi8ELi9ELi10ELi11EEEElEENS5_IJNSB_INS5_IJSK_SP_SP_NSQ_INS5_IJiS2E_NS2A_IiLi64EEEEEELb0EEES2Y_EEENS5_IJSU_SV_SW_SX_SY_EEENS5_IJS1P_SX_SY_NST_IJLi5ELi6ELi7EEEENST_IJLi8ELi9ELi10EEEEEEENST_IJLi5ELi6ELi7ELi8ELi9ELi10EEEElEEEEES35_NS_31BlockToCTileMap_M00_N00_M01_N01ILi128ELi128ES1Y_Lb0EEENS1_30ComputePtrOffsetOfStridedBatchILi1ELi1ELi1EvEELb0ELb0EEEvPKT0_S3D_T1_PT2_T3_T4_T5_iT6_T7_T8_T9_T10_T11_,"axG",@progbits,_ZN2ck16tensor_operation6device12_GLOBAL__N_137kernel_grouped_conv_fwd_dl_multiple_dINS_32GridwiseGemmDlMultipleD_km_kn_mnILi256EDF16_fNS_5TupleIJDF16_EEEDF16_NS0_12element_wise11PassThroughES8_NS7_7AddReluELNS_25InMemoryDataOperationEnumE0ENS_16TensorDescriptorINS5_IJNS_5EmbedINS5_IJiiiiiEEESD_Lb0EEENS_11PassThroughIiEENS_3PadIiiiLb0EEESI_SI_SG_SG_NSC_INS5_IJiiEEESJ_Lb0EEESK_SK_SG_NS_23Merge_v2_magic_divisionINS5_IJiiiiEEEEESN_NS_8RightPadIiiLb0EEESP_NS_7UnMergeISJ_Lb0EEESG_EEENS5_IJNS_8SequenceIJLi0EEEENST_IJLi1EEEENST_IJLi2EEEENST_IJLi3EEEENST_IJLi4EEEENST_IJLi5EEEENST_IJLi6EEEENST_IJLi7EEEENST_IJLi8EEEENST_IJLi9EEEENST_IJLi10EEEENST_IJLi11ELi13ELi15ELi17EEEENST_IJLi12ELi14ELi16ELi18EEEENST_IJLi19EEEENST_IJLi20EEEENST_IJLi22EEEENST_IJLi21EEEEEEENS5_IJNST_IJLi1ELi2ELi3ELi4ELi5EEEES10_S11_S12_S13_S14_NST_IJLi11EEEENST_IJLi12ELi13EEEENST_IJLi14ELi15EEEENST_IJLi16ELi17EEEENST_IJLi18EEEES17_S18_S1A_S19_NST_IJLi23ELi24EEEENST_IJLi25EEEEEEENST_IJLi23ELi25ELi24EEEElEENSB_INS5_IJSR_SP_SP_SR_SG_EEENS5_IJSU_SV_SW_SY_SX_EEENS5_IJNST_IJLi1ELi2EEEESX_SY_NST_IJLi5ELi6EEEES11_EEENST_IJLi5ELi7ELi6EEEElEENSB_INS5_IJSK_SP_SP_EEENS5_IJSU_SV_SW_EEENS5_IJS1P_SX_SY_EEENST_IJLi3ELi4EEEElEELi128ELi128ELi16ELi2ELi4ELi4ELi1ENST_IJLi8ELi2EEEES1Z_NST_IJLi8ELi1ELi1ELi2EEEENST_IJLi2ELi1ELi128ELi1EEEENST_IJLi1ELi2ELi0ELi3EEEES22_NST_IJLi4ELi1ELi1ELi2EEEES22_NST_IJLi1ELi1ELi1ELi2EEEES20_S21_S22_S22_S23_S22_S24_NST_IJLi0ELi1ELi2ELi3ELi4ELi5EEEELi5ELi4EEEDF16_NS5_IJPKDF16_EEEDF16_S8_S8_S9_NSB_INS5_IJSE_SG_SI_SI_SI_SG_SG_SK_SK_SK_SG_SN_SN_SP_SP_SR_SG_SG_NSQ_INS5_IJiNS_17integral_constantIiLi128EEEEEELb0EEENSF_INS2A_IiLi2EEEEEEEENS5_IJSU_SV_SW_SX_SY_SZ_S10_S11_S12_S13_S14_S15_S16_S17_S18_S19_S1A_NST_IJLi23EEEES1J_NST_IJLi24EEEEEEENS5_IJS1C_S10_S11_S12_S13_S14_S1D_S1E_S1F_S1G_S1H_S17_S18_S1A_S19_S1I_S1J_NST_IJLi26EEEENST_IJLi27ELi28EEEENST_IJLi29EEEEEEENST_IJLi26ELi27ELi28ELi29EEEElEENSB_INS5_IJSR_SP_SP_SR_SG_SG_S2D_S2F_EEENS5_IJSU_SV_SW_SY_SX_SZ_S11_S10_EEENS5_IJS1P_SX_SY_S1Q_S11_S12_NST_IJLi9ELi10EEEES1D_EEENST_IJLi8ELi9ELi10ELi11EEEElEENS5_IJNSB_INS5_IJSK_SP_SP_NSQ_INS5_IJiS2E_NS2A_IiLi64EEEEEELb0EEES2Y_EEENS5_IJSU_SV_SW_SX_SY_EEENS5_IJS1P_SX_SY_NST_IJLi5ELi6ELi7EEEENST_IJLi8ELi9ELi10EEEEEEENST_IJLi5ELi6ELi7ELi8ELi9ELi10EEEElEEEEES35_NS_31BlockToCTileMap_M00_N00_M01_N01ILi128ELi128ES1Y_Lb0EEENS1_30ComputePtrOffsetOfStridedBatchILi1ELi1ELi1EvEELb0ELb0EEEvPKT0_S3D_T1_PT2_T3_T4_T5_iT6_T7_T8_T9_T10_T11_,comdat
.Lfunc_end12:
	.size	_ZN2ck16tensor_operation6device12_GLOBAL__N_137kernel_grouped_conv_fwd_dl_multiple_dINS_32GridwiseGemmDlMultipleD_km_kn_mnILi256EDF16_fNS_5TupleIJDF16_EEEDF16_NS0_12element_wise11PassThroughES8_NS7_7AddReluELNS_25InMemoryDataOperationEnumE0ENS_16TensorDescriptorINS5_IJNS_5EmbedINS5_IJiiiiiEEESD_Lb0EEENS_11PassThroughIiEENS_3PadIiiiLb0EEESI_SI_SG_SG_NSC_INS5_IJiiEEESJ_Lb0EEESK_SK_SG_NS_23Merge_v2_magic_divisionINS5_IJiiiiEEEEESN_NS_8RightPadIiiLb0EEESP_NS_7UnMergeISJ_Lb0EEESG_EEENS5_IJNS_8SequenceIJLi0EEEENST_IJLi1EEEENST_IJLi2EEEENST_IJLi3EEEENST_IJLi4EEEENST_IJLi5EEEENST_IJLi6EEEENST_IJLi7EEEENST_IJLi8EEEENST_IJLi9EEEENST_IJLi10EEEENST_IJLi11ELi13ELi15ELi17EEEENST_IJLi12ELi14ELi16ELi18EEEENST_IJLi19EEEENST_IJLi20EEEENST_IJLi22EEEENST_IJLi21EEEEEEENS5_IJNST_IJLi1ELi2ELi3ELi4ELi5EEEES10_S11_S12_S13_S14_NST_IJLi11EEEENST_IJLi12ELi13EEEENST_IJLi14ELi15EEEENST_IJLi16ELi17EEEENST_IJLi18EEEES17_S18_S1A_S19_NST_IJLi23ELi24EEEENST_IJLi25EEEEEEENST_IJLi23ELi25ELi24EEEElEENSB_INS5_IJSR_SP_SP_SR_SG_EEENS5_IJSU_SV_SW_SY_SX_EEENS5_IJNST_IJLi1ELi2EEEESX_SY_NST_IJLi5ELi6EEEES11_EEENST_IJLi5ELi7ELi6EEEElEENSB_INS5_IJSK_SP_SP_EEENS5_IJSU_SV_SW_EEENS5_IJS1P_SX_SY_EEENST_IJLi3ELi4EEEElEELi128ELi128ELi16ELi2ELi4ELi4ELi1ENST_IJLi8ELi2EEEES1Z_NST_IJLi8ELi1ELi1ELi2EEEENST_IJLi2ELi1ELi128ELi1EEEENST_IJLi1ELi2ELi0ELi3EEEES22_NST_IJLi4ELi1ELi1ELi2EEEES22_NST_IJLi1ELi1ELi1ELi2EEEES20_S21_S22_S22_S23_S22_S24_NST_IJLi0ELi1ELi2ELi3ELi4ELi5EEEELi5ELi4EEEDF16_NS5_IJPKDF16_EEEDF16_S8_S8_S9_NSB_INS5_IJSE_SG_SI_SI_SI_SG_SG_SK_SK_SK_SG_SN_SN_SP_SP_SR_SG_SG_NSQ_INS5_IJiNS_17integral_constantIiLi128EEEEEELb0EEENSF_INS2A_IiLi2EEEEEEEENS5_IJSU_SV_SW_SX_SY_SZ_S10_S11_S12_S13_S14_S15_S16_S17_S18_S19_S1A_NST_IJLi23EEEES1J_NST_IJLi24EEEEEEENS5_IJS1C_S10_S11_S12_S13_S14_S1D_S1E_S1F_S1G_S1H_S17_S18_S1A_S19_S1I_S1J_NST_IJLi26EEEENST_IJLi27ELi28EEEENST_IJLi29EEEEEEENST_IJLi26ELi27ELi28ELi29EEEElEENSB_INS5_IJSR_SP_SP_SR_SG_SG_S2D_S2F_EEENS5_IJSU_SV_SW_SY_SX_SZ_S11_S10_EEENS5_IJS1P_SX_SY_S1Q_S11_S12_NST_IJLi9ELi10EEEES1D_EEENST_IJLi8ELi9ELi10ELi11EEEElEENS5_IJNSB_INS5_IJSK_SP_SP_NSQ_INS5_IJiS2E_NS2A_IiLi64EEEEEELb0EEES2Y_EEENS5_IJSU_SV_SW_SX_SY_EEENS5_IJS1P_SX_SY_NST_IJLi5ELi6ELi7EEEENST_IJLi8ELi9ELi10EEEEEEENST_IJLi5ELi6ELi7ELi8ELi9ELi10EEEElEEEEES35_NS_31BlockToCTileMap_M00_N00_M01_N01ILi128ELi128ES1Y_Lb0EEENS1_30ComputePtrOffsetOfStridedBatchILi1ELi1ELi1EvEELb0ELb0EEEvPKT0_S3D_T1_PT2_T3_T4_T5_iT6_T7_T8_T9_T10_T11_, .Lfunc_end12-_ZN2ck16tensor_operation6device12_GLOBAL__N_137kernel_grouped_conv_fwd_dl_multiple_dINS_32GridwiseGemmDlMultipleD_km_kn_mnILi256EDF16_fNS_5TupleIJDF16_EEEDF16_NS0_12element_wise11PassThroughES8_NS7_7AddReluELNS_25InMemoryDataOperationEnumE0ENS_16TensorDescriptorINS5_IJNS_5EmbedINS5_IJiiiiiEEESD_Lb0EEENS_11PassThroughIiEENS_3PadIiiiLb0EEESI_SI_SG_SG_NSC_INS5_IJiiEEESJ_Lb0EEESK_SK_SG_NS_23Merge_v2_magic_divisionINS5_IJiiiiEEEEESN_NS_8RightPadIiiLb0EEESP_NS_7UnMergeISJ_Lb0EEESG_EEENS5_IJNS_8SequenceIJLi0EEEENST_IJLi1EEEENST_IJLi2EEEENST_IJLi3EEEENST_IJLi4EEEENST_IJLi5EEEENST_IJLi6EEEENST_IJLi7EEEENST_IJLi8EEEENST_IJLi9EEEENST_IJLi10EEEENST_IJLi11ELi13ELi15ELi17EEEENST_IJLi12ELi14ELi16ELi18EEEENST_IJLi19EEEENST_IJLi20EEEENST_IJLi22EEEENST_IJLi21EEEEEEENS5_IJNST_IJLi1ELi2ELi3ELi4ELi5EEEES10_S11_S12_S13_S14_NST_IJLi11EEEENST_IJLi12ELi13EEEENST_IJLi14ELi15EEEENST_IJLi16ELi17EEEENST_IJLi18EEEES17_S18_S1A_S19_NST_IJLi23ELi24EEEENST_IJLi25EEEEEEENST_IJLi23ELi25ELi24EEEElEENSB_INS5_IJSR_SP_SP_SR_SG_EEENS5_IJSU_SV_SW_SY_SX_EEENS5_IJNST_IJLi1ELi2EEEESX_SY_NST_IJLi5ELi6EEEES11_EEENST_IJLi5ELi7ELi6EEEElEENSB_INS5_IJSK_SP_SP_EEENS5_IJSU_SV_SW_EEENS5_IJS1P_SX_SY_EEENST_IJLi3ELi4EEEElEELi128ELi128ELi16ELi2ELi4ELi4ELi1ENST_IJLi8ELi2EEEES1Z_NST_IJLi8ELi1ELi1ELi2EEEENST_IJLi2ELi1ELi128ELi1EEEENST_IJLi1ELi2ELi0ELi3EEEES22_NST_IJLi4ELi1ELi1ELi2EEEES22_NST_IJLi1ELi1ELi1ELi2EEEES20_S21_S22_S22_S23_S22_S24_NST_IJLi0ELi1ELi2ELi3ELi4ELi5EEEELi5ELi4EEEDF16_NS5_IJPKDF16_EEEDF16_S8_S8_S9_NSB_INS5_IJSE_SG_SI_SI_SI_SG_SG_SK_SK_SK_SG_SN_SN_SP_SP_SR_SG_SG_NSQ_INS5_IJiNS_17integral_constantIiLi128EEEEEELb0EEENSF_INS2A_IiLi2EEEEEEEENS5_IJSU_SV_SW_SX_SY_SZ_S10_S11_S12_S13_S14_S15_S16_S17_S18_S19_S1A_NST_IJLi23EEEES1J_NST_IJLi24EEEEEEENS5_IJS1C_S10_S11_S12_S13_S14_S1D_S1E_S1F_S1G_S1H_S17_S18_S1A_S19_S1I_S1J_NST_IJLi26EEEENST_IJLi27ELi28EEEENST_IJLi29EEEEEEENST_IJLi26ELi27ELi28ELi29EEEElEENSB_INS5_IJSR_SP_SP_SR_SG_SG_S2D_S2F_EEENS5_IJSU_SV_SW_SY_SX_SZ_S11_S10_EEENS5_IJS1P_SX_SY_S1Q_S11_S12_NST_IJLi9ELi10EEEES1D_EEENST_IJLi8ELi9ELi10ELi11EEEElEENS5_IJNSB_INS5_IJSK_SP_SP_NSQ_INS5_IJiS2E_NS2A_IiLi64EEEEEELb0EEES2Y_EEENS5_IJSU_SV_SW_SX_SY_EEENS5_IJS1P_SX_SY_NST_IJLi5ELi6ELi7EEEENST_IJLi8ELi9ELi10EEEEEEENST_IJLi5ELi6ELi7ELi8ELi9ELi10EEEElEEEEES35_NS_31BlockToCTileMap_M00_N00_M01_N01ILi128ELi128ES1Y_Lb0EEENS1_30ComputePtrOffsetOfStridedBatchILi1ELi1ELi1EvEELb0ELb0EEEvPKT0_S3D_T1_PT2_T3_T4_T5_iT6_T7_T8_T9_T10_T11_
                                        ; -- End function
	.set _ZN2ck16tensor_operation6device12_GLOBAL__N_137kernel_grouped_conv_fwd_dl_multiple_dINS_32GridwiseGemmDlMultipleD_km_kn_mnILi256EDF16_fNS_5TupleIJDF16_EEEDF16_NS0_12element_wise11PassThroughES8_NS7_7AddReluELNS_25InMemoryDataOperationEnumE0ENS_16TensorDescriptorINS5_IJNS_5EmbedINS5_IJiiiiiEEESD_Lb0EEENS_11PassThroughIiEENS_3PadIiiiLb0EEESI_SI_SG_SG_NSC_INS5_IJiiEEESJ_Lb0EEESK_SK_SG_NS_23Merge_v2_magic_divisionINS5_IJiiiiEEEEESN_NS_8RightPadIiiLb0EEESP_NS_7UnMergeISJ_Lb0EEESG_EEENS5_IJNS_8SequenceIJLi0EEEENST_IJLi1EEEENST_IJLi2EEEENST_IJLi3EEEENST_IJLi4EEEENST_IJLi5EEEENST_IJLi6EEEENST_IJLi7EEEENST_IJLi8EEEENST_IJLi9EEEENST_IJLi10EEEENST_IJLi11ELi13ELi15ELi17EEEENST_IJLi12ELi14ELi16ELi18EEEENST_IJLi19EEEENST_IJLi20EEEENST_IJLi22EEEENST_IJLi21EEEEEEENS5_IJNST_IJLi1ELi2ELi3ELi4ELi5EEEES10_S11_S12_S13_S14_NST_IJLi11EEEENST_IJLi12ELi13EEEENST_IJLi14ELi15EEEENST_IJLi16ELi17EEEENST_IJLi18EEEES17_S18_S1A_S19_NST_IJLi23ELi24EEEENST_IJLi25EEEEEEENST_IJLi23ELi25ELi24EEEElEENSB_INS5_IJSR_SP_SP_SR_SG_EEENS5_IJSU_SV_SW_SY_SX_EEENS5_IJNST_IJLi1ELi2EEEESX_SY_NST_IJLi5ELi6EEEES11_EEENST_IJLi5ELi7ELi6EEEElEENSB_INS5_IJSK_SP_SP_EEENS5_IJSU_SV_SW_EEENS5_IJS1P_SX_SY_EEENST_IJLi3ELi4EEEElEELi128ELi128ELi16ELi2ELi4ELi4ELi1ENST_IJLi8ELi2EEEES1Z_NST_IJLi8ELi1ELi1ELi2EEEENST_IJLi2ELi1ELi128ELi1EEEENST_IJLi1ELi2ELi0ELi3EEEES22_NST_IJLi4ELi1ELi1ELi2EEEES22_NST_IJLi1ELi1ELi1ELi2EEEES20_S21_S22_S22_S23_S22_S24_NST_IJLi0ELi1ELi2ELi3ELi4ELi5EEEELi5ELi4EEEDF16_NS5_IJPKDF16_EEEDF16_S8_S8_S9_NSB_INS5_IJSE_SG_SI_SI_SI_SG_SG_SK_SK_SK_SG_SN_SN_SP_SP_SR_SG_SG_NSQ_INS5_IJiNS_17integral_constantIiLi128EEEEEELb0EEENSF_INS2A_IiLi2EEEEEEEENS5_IJSU_SV_SW_SX_SY_SZ_S10_S11_S12_S13_S14_S15_S16_S17_S18_S19_S1A_NST_IJLi23EEEES1J_NST_IJLi24EEEEEEENS5_IJS1C_S10_S11_S12_S13_S14_S1D_S1E_S1F_S1G_S1H_S17_S18_S1A_S19_S1I_S1J_NST_IJLi26EEEENST_IJLi27ELi28EEEENST_IJLi29EEEEEEENST_IJLi26ELi27ELi28ELi29EEEElEENSB_INS5_IJSR_SP_SP_SR_SG_SG_S2D_S2F_EEENS5_IJSU_SV_SW_SY_SX_SZ_S11_S10_EEENS5_IJS1P_SX_SY_S1Q_S11_S12_NST_IJLi9ELi10EEEES1D_EEENST_IJLi8ELi9ELi10ELi11EEEElEENS5_IJNSB_INS5_IJSK_SP_SP_NSQ_INS5_IJiS2E_NS2A_IiLi64EEEEEELb0EEES2Y_EEENS5_IJSU_SV_SW_SX_SY_EEENS5_IJS1P_SX_SY_NST_IJLi5ELi6ELi7EEEENST_IJLi8ELi9ELi10EEEEEEENST_IJLi5ELi6ELi7ELi8ELi9ELi10EEEElEEEEES35_NS_31BlockToCTileMap_M00_N00_M01_N01ILi128ELi128ES1Y_Lb0EEENS1_30ComputePtrOffsetOfStridedBatchILi1ELi1ELi1EvEELb0ELb0EEEvPKT0_S3D_T1_PT2_T3_T4_T5_iT6_T7_T8_T9_T10_T11_.num_vgpr, 124
	.set _ZN2ck16tensor_operation6device12_GLOBAL__N_137kernel_grouped_conv_fwd_dl_multiple_dINS_32GridwiseGemmDlMultipleD_km_kn_mnILi256EDF16_fNS_5TupleIJDF16_EEEDF16_NS0_12element_wise11PassThroughES8_NS7_7AddReluELNS_25InMemoryDataOperationEnumE0ENS_16TensorDescriptorINS5_IJNS_5EmbedINS5_IJiiiiiEEESD_Lb0EEENS_11PassThroughIiEENS_3PadIiiiLb0EEESI_SI_SG_SG_NSC_INS5_IJiiEEESJ_Lb0EEESK_SK_SG_NS_23Merge_v2_magic_divisionINS5_IJiiiiEEEEESN_NS_8RightPadIiiLb0EEESP_NS_7UnMergeISJ_Lb0EEESG_EEENS5_IJNS_8SequenceIJLi0EEEENST_IJLi1EEEENST_IJLi2EEEENST_IJLi3EEEENST_IJLi4EEEENST_IJLi5EEEENST_IJLi6EEEENST_IJLi7EEEENST_IJLi8EEEENST_IJLi9EEEENST_IJLi10EEEENST_IJLi11ELi13ELi15ELi17EEEENST_IJLi12ELi14ELi16ELi18EEEENST_IJLi19EEEENST_IJLi20EEEENST_IJLi22EEEENST_IJLi21EEEEEEENS5_IJNST_IJLi1ELi2ELi3ELi4ELi5EEEES10_S11_S12_S13_S14_NST_IJLi11EEEENST_IJLi12ELi13EEEENST_IJLi14ELi15EEEENST_IJLi16ELi17EEEENST_IJLi18EEEES17_S18_S1A_S19_NST_IJLi23ELi24EEEENST_IJLi25EEEEEEENST_IJLi23ELi25ELi24EEEElEENSB_INS5_IJSR_SP_SP_SR_SG_EEENS5_IJSU_SV_SW_SY_SX_EEENS5_IJNST_IJLi1ELi2EEEESX_SY_NST_IJLi5ELi6EEEES11_EEENST_IJLi5ELi7ELi6EEEElEENSB_INS5_IJSK_SP_SP_EEENS5_IJSU_SV_SW_EEENS5_IJS1P_SX_SY_EEENST_IJLi3ELi4EEEElEELi128ELi128ELi16ELi2ELi4ELi4ELi1ENST_IJLi8ELi2EEEES1Z_NST_IJLi8ELi1ELi1ELi2EEEENST_IJLi2ELi1ELi128ELi1EEEENST_IJLi1ELi2ELi0ELi3EEEES22_NST_IJLi4ELi1ELi1ELi2EEEES22_NST_IJLi1ELi1ELi1ELi2EEEES20_S21_S22_S22_S23_S22_S24_NST_IJLi0ELi1ELi2ELi3ELi4ELi5EEEELi5ELi4EEEDF16_NS5_IJPKDF16_EEEDF16_S8_S8_S9_NSB_INS5_IJSE_SG_SI_SI_SI_SG_SG_SK_SK_SK_SG_SN_SN_SP_SP_SR_SG_SG_NSQ_INS5_IJiNS_17integral_constantIiLi128EEEEEELb0EEENSF_INS2A_IiLi2EEEEEEEENS5_IJSU_SV_SW_SX_SY_SZ_S10_S11_S12_S13_S14_S15_S16_S17_S18_S19_S1A_NST_IJLi23EEEES1J_NST_IJLi24EEEEEEENS5_IJS1C_S10_S11_S12_S13_S14_S1D_S1E_S1F_S1G_S1H_S17_S18_S1A_S19_S1I_S1J_NST_IJLi26EEEENST_IJLi27ELi28EEEENST_IJLi29EEEEEEENST_IJLi26ELi27ELi28ELi29EEEElEENSB_INS5_IJSR_SP_SP_SR_SG_SG_S2D_S2F_EEENS5_IJSU_SV_SW_SY_SX_SZ_S11_S10_EEENS5_IJS1P_SX_SY_S1Q_S11_S12_NST_IJLi9ELi10EEEES1D_EEENST_IJLi8ELi9ELi10ELi11EEEElEENS5_IJNSB_INS5_IJSK_SP_SP_NSQ_INS5_IJiS2E_NS2A_IiLi64EEEEEELb0EEES2Y_EEENS5_IJSU_SV_SW_SX_SY_EEENS5_IJS1P_SX_SY_NST_IJLi5ELi6ELi7EEEENST_IJLi8ELi9ELi10EEEEEEENST_IJLi5ELi6ELi7ELi8ELi9ELi10EEEElEEEEES35_NS_31BlockToCTileMap_M00_N00_M01_N01ILi128ELi128ES1Y_Lb0EEENS1_30ComputePtrOffsetOfStridedBatchILi1ELi1ELi1EvEELb0ELb0EEEvPKT0_S3D_T1_PT2_T3_T4_T5_iT6_T7_T8_T9_T10_T11_.num_agpr, 0
	.set _ZN2ck16tensor_operation6device12_GLOBAL__N_137kernel_grouped_conv_fwd_dl_multiple_dINS_32GridwiseGemmDlMultipleD_km_kn_mnILi256EDF16_fNS_5TupleIJDF16_EEEDF16_NS0_12element_wise11PassThroughES8_NS7_7AddReluELNS_25InMemoryDataOperationEnumE0ENS_16TensorDescriptorINS5_IJNS_5EmbedINS5_IJiiiiiEEESD_Lb0EEENS_11PassThroughIiEENS_3PadIiiiLb0EEESI_SI_SG_SG_NSC_INS5_IJiiEEESJ_Lb0EEESK_SK_SG_NS_23Merge_v2_magic_divisionINS5_IJiiiiEEEEESN_NS_8RightPadIiiLb0EEESP_NS_7UnMergeISJ_Lb0EEESG_EEENS5_IJNS_8SequenceIJLi0EEEENST_IJLi1EEEENST_IJLi2EEEENST_IJLi3EEEENST_IJLi4EEEENST_IJLi5EEEENST_IJLi6EEEENST_IJLi7EEEENST_IJLi8EEEENST_IJLi9EEEENST_IJLi10EEEENST_IJLi11ELi13ELi15ELi17EEEENST_IJLi12ELi14ELi16ELi18EEEENST_IJLi19EEEENST_IJLi20EEEENST_IJLi22EEEENST_IJLi21EEEEEEENS5_IJNST_IJLi1ELi2ELi3ELi4ELi5EEEES10_S11_S12_S13_S14_NST_IJLi11EEEENST_IJLi12ELi13EEEENST_IJLi14ELi15EEEENST_IJLi16ELi17EEEENST_IJLi18EEEES17_S18_S1A_S19_NST_IJLi23ELi24EEEENST_IJLi25EEEEEEENST_IJLi23ELi25ELi24EEEElEENSB_INS5_IJSR_SP_SP_SR_SG_EEENS5_IJSU_SV_SW_SY_SX_EEENS5_IJNST_IJLi1ELi2EEEESX_SY_NST_IJLi5ELi6EEEES11_EEENST_IJLi5ELi7ELi6EEEElEENSB_INS5_IJSK_SP_SP_EEENS5_IJSU_SV_SW_EEENS5_IJS1P_SX_SY_EEENST_IJLi3ELi4EEEElEELi128ELi128ELi16ELi2ELi4ELi4ELi1ENST_IJLi8ELi2EEEES1Z_NST_IJLi8ELi1ELi1ELi2EEEENST_IJLi2ELi1ELi128ELi1EEEENST_IJLi1ELi2ELi0ELi3EEEES22_NST_IJLi4ELi1ELi1ELi2EEEES22_NST_IJLi1ELi1ELi1ELi2EEEES20_S21_S22_S22_S23_S22_S24_NST_IJLi0ELi1ELi2ELi3ELi4ELi5EEEELi5ELi4EEEDF16_NS5_IJPKDF16_EEEDF16_S8_S8_S9_NSB_INS5_IJSE_SG_SI_SI_SI_SG_SG_SK_SK_SK_SG_SN_SN_SP_SP_SR_SG_SG_NSQ_INS5_IJiNS_17integral_constantIiLi128EEEEEELb0EEENSF_INS2A_IiLi2EEEEEEEENS5_IJSU_SV_SW_SX_SY_SZ_S10_S11_S12_S13_S14_S15_S16_S17_S18_S19_S1A_NST_IJLi23EEEES1J_NST_IJLi24EEEEEEENS5_IJS1C_S10_S11_S12_S13_S14_S1D_S1E_S1F_S1G_S1H_S17_S18_S1A_S19_S1I_S1J_NST_IJLi26EEEENST_IJLi27ELi28EEEENST_IJLi29EEEEEEENST_IJLi26ELi27ELi28ELi29EEEElEENSB_INS5_IJSR_SP_SP_SR_SG_SG_S2D_S2F_EEENS5_IJSU_SV_SW_SY_SX_SZ_S11_S10_EEENS5_IJS1P_SX_SY_S1Q_S11_S12_NST_IJLi9ELi10EEEES1D_EEENST_IJLi8ELi9ELi10ELi11EEEElEENS5_IJNSB_INS5_IJSK_SP_SP_NSQ_INS5_IJiS2E_NS2A_IiLi64EEEEEELb0EEES2Y_EEENS5_IJSU_SV_SW_SX_SY_EEENS5_IJS1P_SX_SY_NST_IJLi5ELi6ELi7EEEENST_IJLi8ELi9ELi10EEEEEEENST_IJLi5ELi6ELi7ELi8ELi9ELi10EEEElEEEEES35_NS_31BlockToCTileMap_M00_N00_M01_N01ILi128ELi128ES1Y_Lb0EEENS1_30ComputePtrOffsetOfStridedBatchILi1ELi1ELi1EvEELb0ELb0EEEvPKT0_S3D_T1_PT2_T3_T4_T5_iT6_T7_T8_T9_T10_T11_.numbered_sgpr, 76
	.set _ZN2ck16tensor_operation6device12_GLOBAL__N_137kernel_grouped_conv_fwd_dl_multiple_dINS_32GridwiseGemmDlMultipleD_km_kn_mnILi256EDF16_fNS_5TupleIJDF16_EEEDF16_NS0_12element_wise11PassThroughES8_NS7_7AddReluELNS_25InMemoryDataOperationEnumE0ENS_16TensorDescriptorINS5_IJNS_5EmbedINS5_IJiiiiiEEESD_Lb0EEENS_11PassThroughIiEENS_3PadIiiiLb0EEESI_SI_SG_SG_NSC_INS5_IJiiEEESJ_Lb0EEESK_SK_SG_NS_23Merge_v2_magic_divisionINS5_IJiiiiEEEEESN_NS_8RightPadIiiLb0EEESP_NS_7UnMergeISJ_Lb0EEESG_EEENS5_IJNS_8SequenceIJLi0EEEENST_IJLi1EEEENST_IJLi2EEEENST_IJLi3EEEENST_IJLi4EEEENST_IJLi5EEEENST_IJLi6EEEENST_IJLi7EEEENST_IJLi8EEEENST_IJLi9EEEENST_IJLi10EEEENST_IJLi11ELi13ELi15ELi17EEEENST_IJLi12ELi14ELi16ELi18EEEENST_IJLi19EEEENST_IJLi20EEEENST_IJLi22EEEENST_IJLi21EEEEEEENS5_IJNST_IJLi1ELi2ELi3ELi4ELi5EEEES10_S11_S12_S13_S14_NST_IJLi11EEEENST_IJLi12ELi13EEEENST_IJLi14ELi15EEEENST_IJLi16ELi17EEEENST_IJLi18EEEES17_S18_S1A_S19_NST_IJLi23ELi24EEEENST_IJLi25EEEEEEENST_IJLi23ELi25ELi24EEEElEENSB_INS5_IJSR_SP_SP_SR_SG_EEENS5_IJSU_SV_SW_SY_SX_EEENS5_IJNST_IJLi1ELi2EEEESX_SY_NST_IJLi5ELi6EEEES11_EEENST_IJLi5ELi7ELi6EEEElEENSB_INS5_IJSK_SP_SP_EEENS5_IJSU_SV_SW_EEENS5_IJS1P_SX_SY_EEENST_IJLi3ELi4EEEElEELi128ELi128ELi16ELi2ELi4ELi4ELi1ENST_IJLi8ELi2EEEES1Z_NST_IJLi8ELi1ELi1ELi2EEEENST_IJLi2ELi1ELi128ELi1EEEENST_IJLi1ELi2ELi0ELi3EEEES22_NST_IJLi4ELi1ELi1ELi2EEEES22_NST_IJLi1ELi1ELi1ELi2EEEES20_S21_S22_S22_S23_S22_S24_NST_IJLi0ELi1ELi2ELi3ELi4ELi5EEEELi5ELi4EEEDF16_NS5_IJPKDF16_EEEDF16_S8_S8_S9_NSB_INS5_IJSE_SG_SI_SI_SI_SG_SG_SK_SK_SK_SG_SN_SN_SP_SP_SR_SG_SG_NSQ_INS5_IJiNS_17integral_constantIiLi128EEEEEELb0EEENSF_INS2A_IiLi2EEEEEEEENS5_IJSU_SV_SW_SX_SY_SZ_S10_S11_S12_S13_S14_S15_S16_S17_S18_S19_S1A_NST_IJLi23EEEES1J_NST_IJLi24EEEEEEENS5_IJS1C_S10_S11_S12_S13_S14_S1D_S1E_S1F_S1G_S1H_S17_S18_S1A_S19_S1I_S1J_NST_IJLi26EEEENST_IJLi27ELi28EEEENST_IJLi29EEEEEEENST_IJLi26ELi27ELi28ELi29EEEElEENSB_INS5_IJSR_SP_SP_SR_SG_SG_S2D_S2F_EEENS5_IJSU_SV_SW_SY_SX_SZ_S11_S10_EEENS5_IJS1P_SX_SY_S1Q_S11_S12_NST_IJLi9ELi10EEEES1D_EEENST_IJLi8ELi9ELi10ELi11EEEElEENS5_IJNSB_INS5_IJSK_SP_SP_NSQ_INS5_IJiS2E_NS2A_IiLi64EEEEEELb0EEES2Y_EEENS5_IJSU_SV_SW_SX_SY_EEENS5_IJS1P_SX_SY_NST_IJLi5ELi6ELi7EEEENST_IJLi8ELi9ELi10EEEEEEENST_IJLi5ELi6ELi7ELi8ELi9ELi10EEEElEEEEES35_NS_31BlockToCTileMap_M00_N00_M01_N01ILi128ELi128ES1Y_Lb0EEENS1_30ComputePtrOffsetOfStridedBatchILi1ELi1ELi1EvEELb0ELb0EEEvPKT0_S3D_T1_PT2_T3_T4_T5_iT6_T7_T8_T9_T10_T11_.num_named_barrier, 0
	.set _ZN2ck16tensor_operation6device12_GLOBAL__N_137kernel_grouped_conv_fwd_dl_multiple_dINS_32GridwiseGemmDlMultipleD_km_kn_mnILi256EDF16_fNS_5TupleIJDF16_EEEDF16_NS0_12element_wise11PassThroughES8_NS7_7AddReluELNS_25InMemoryDataOperationEnumE0ENS_16TensorDescriptorINS5_IJNS_5EmbedINS5_IJiiiiiEEESD_Lb0EEENS_11PassThroughIiEENS_3PadIiiiLb0EEESI_SI_SG_SG_NSC_INS5_IJiiEEESJ_Lb0EEESK_SK_SG_NS_23Merge_v2_magic_divisionINS5_IJiiiiEEEEESN_NS_8RightPadIiiLb0EEESP_NS_7UnMergeISJ_Lb0EEESG_EEENS5_IJNS_8SequenceIJLi0EEEENST_IJLi1EEEENST_IJLi2EEEENST_IJLi3EEEENST_IJLi4EEEENST_IJLi5EEEENST_IJLi6EEEENST_IJLi7EEEENST_IJLi8EEEENST_IJLi9EEEENST_IJLi10EEEENST_IJLi11ELi13ELi15ELi17EEEENST_IJLi12ELi14ELi16ELi18EEEENST_IJLi19EEEENST_IJLi20EEEENST_IJLi22EEEENST_IJLi21EEEEEEENS5_IJNST_IJLi1ELi2ELi3ELi4ELi5EEEES10_S11_S12_S13_S14_NST_IJLi11EEEENST_IJLi12ELi13EEEENST_IJLi14ELi15EEEENST_IJLi16ELi17EEEENST_IJLi18EEEES17_S18_S1A_S19_NST_IJLi23ELi24EEEENST_IJLi25EEEEEEENST_IJLi23ELi25ELi24EEEElEENSB_INS5_IJSR_SP_SP_SR_SG_EEENS5_IJSU_SV_SW_SY_SX_EEENS5_IJNST_IJLi1ELi2EEEESX_SY_NST_IJLi5ELi6EEEES11_EEENST_IJLi5ELi7ELi6EEEElEENSB_INS5_IJSK_SP_SP_EEENS5_IJSU_SV_SW_EEENS5_IJS1P_SX_SY_EEENST_IJLi3ELi4EEEElEELi128ELi128ELi16ELi2ELi4ELi4ELi1ENST_IJLi8ELi2EEEES1Z_NST_IJLi8ELi1ELi1ELi2EEEENST_IJLi2ELi1ELi128ELi1EEEENST_IJLi1ELi2ELi0ELi3EEEES22_NST_IJLi4ELi1ELi1ELi2EEEES22_NST_IJLi1ELi1ELi1ELi2EEEES20_S21_S22_S22_S23_S22_S24_NST_IJLi0ELi1ELi2ELi3ELi4ELi5EEEELi5ELi4EEEDF16_NS5_IJPKDF16_EEEDF16_S8_S8_S9_NSB_INS5_IJSE_SG_SI_SI_SI_SG_SG_SK_SK_SK_SG_SN_SN_SP_SP_SR_SG_SG_NSQ_INS5_IJiNS_17integral_constantIiLi128EEEEEELb0EEENSF_INS2A_IiLi2EEEEEEEENS5_IJSU_SV_SW_SX_SY_SZ_S10_S11_S12_S13_S14_S15_S16_S17_S18_S19_S1A_NST_IJLi23EEEES1J_NST_IJLi24EEEEEEENS5_IJS1C_S10_S11_S12_S13_S14_S1D_S1E_S1F_S1G_S1H_S17_S18_S1A_S19_S1I_S1J_NST_IJLi26EEEENST_IJLi27ELi28EEEENST_IJLi29EEEEEEENST_IJLi26ELi27ELi28ELi29EEEElEENSB_INS5_IJSR_SP_SP_SR_SG_SG_S2D_S2F_EEENS5_IJSU_SV_SW_SY_SX_SZ_S11_S10_EEENS5_IJS1P_SX_SY_S1Q_S11_S12_NST_IJLi9ELi10EEEES1D_EEENST_IJLi8ELi9ELi10ELi11EEEElEENS5_IJNSB_INS5_IJSK_SP_SP_NSQ_INS5_IJiS2E_NS2A_IiLi64EEEEEELb0EEES2Y_EEENS5_IJSU_SV_SW_SX_SY_EEENS5_IJS1P_SX_SY_NST_IJLi5ELi6ELi7EEEENST_IJLi8ELi9ELi10EEEEEEENST_IJLi5ELi6ELi7ELi8ELi9ELi10EEEElEEEEES35_NS_31BlockToCTileMap_M00_N00_M01_N01ILi128ELi128ES1Y_Lb0EEENS1_30ComputePtrOffsetOfStridedBatchILi1ELi1ELi1EvEELb0ELb0EEEvPKT0_S3D_T1_PT2_T3_T4_T5_iT6_T7_T8_T9_T10_T11_.private_seg_size, 0
	.set _ZN2ck16tensor_operation6device12_GLOBAL__N_137kernel_grouped_conv_fwd_dl_multiple_dINS_32GridwiseGemmDlMultipleD_km_kn_mnILi256EDF16_fNS_5TupleIJDF16_EEEDF16_NS0_12element_wise11PassThroughES8_NS7_7AddReluELNS_25InMemoryDataOperationEnumE0ENS_16TensorDescriptorINS5_IJNS_5EmbedINS5_IJiiiiiEEESD_Lb0EEENS_11PassThroughIiEENS_3PadIiiiLb0EEESI_SI_SG_SG_NSC_INS5_IJiiEEESJ_Lb0EEESK_SK_SG_NS_23Merge_v2_magic_divisionINS5_IJiiiiEEEEESN_NS_8RightPadIiiLb0EEESP_NS_7UnMergeISJ_Lb0EEESG_EEENS5_IJNS_8SequenceIJLi0EEEENST_IJLi1EEEENST_IJLi2EEEENST_IJLi3EEEENST_IJLi4EEEENST_IJLi5EEEENST_IJLi6EEEENST_IJLi7EEEENST_IJLi8EEEENST_IJLi9EEEENST_IJLi10EEEENST_IJLi11ELi13ELi15ELi17EEEENST_IJLi12ELi14ELi16ELi18EEEENST_IJLi19EEEENST_IJLi20EEEENST_IJLi22EEEENST_IJLi21EEEEEEENS5_IJNST_IJLi1ELi2ELi3ELi4ELi5EEEES10_S11_S12_S13_S14_NST_IJLi11EEEENST_IJLi12ELi13EEEENST_IJLi14ELi15EEEENST_IJLi16ELi17EEEENST_IJLi18EEEES17_S18_S1A_S19_NST_IJLi23ELi24EEEENST_IJLi25EEEEEEENST_IJLi23ELi25ELi24EEEElEENSB_INS5_IJSR_SP_SP_SR_SG_EEENS5_IJSU_SV_SW_SY_SX_EEENS5_IJNST_IJLi1ELi2EEEESX_SY_NST_IJLi5ELi6EEEES11_EEENST_IJLi5ELi7ELi6EEEElEENSB_INS5_IJSK_SP_SP_EEENS5_IJSU_SV_SW_EEENS5_IJS1P_SX_SY_EEENST_IJLi3ELi4EEEElEELi128ELi128ELi16ELi2ELi4ELi4ELi1ENST_IJLi8ELi2EEEES1Z_NST_IJLi8ELi1ELi1ELi2EEEENST_IJLi2ELi1ELi128ELi1EEEENST_IJLi1ELi2ELi0ELi3EEEES22_NST_IJLi4ELi1ELi1ELi2EEEES22_NST_IJLi1ELi1ELi1ELi2EEEES20_S21_S22_S22_S23_S22_S24_NST_IJLi0ELi1ELi2ELi3ELi4ELi5EEEELi5ELi4EEEDF16_NS5_IJPKDF16_EEEDF16_S8_S8_S9_NSB_INS5_IJSE_SG_SI_SI_SI_SG_SG_SK_SK_SK_SG_SN_SN_SP_SP_SR_SG_SG_NSQ_INS5_IJiNS_17integral_constantIiLi128EEEEEELb0EEENSF_INS2A_IiLi2EEEEEEEENS5_IJSU_SV_SW_SX_SY_SZ_S10_S11_S12_S13_S14_S15_S16_S17_S18_S19_S1A_NST_IJLi23EEEES1J_NST_IJLi24EEEEEEENS5_IJS1C_S10_S11_S12_S13_S14_S1D_S1E_S1F_S1G_S1H_S17_S18_S1A_S19_S1I_S1J_NST_IJLi26EEEENST_IJLi27ELi28EEEENST_IJLi29EEEEEEENST_IJLi26ELi27ELi28ELi29EEEElEENSB_INS5_IJSR_SP_SP_SR_SG_SG_S2D_S2F_EEENS5_IJSU_SV_SW_SY_SX_SZ_S11_S10_EEENS5_IJS1P_SX_SY_S1Q_S11_S12_NST_IJLi9ELi10EEEES1D_EEENST_IJLi8ELi9ELi10ELi11EEEElEENS5_IJNSB_INS5_IJSK_SP_SP_NSQ_INS5_IJiS2E_NS2A_IiLi64EEEEEELb0EEES2Y_EEENS5_IJSU_SV_SW_SX_SY_EEENS5_IJS1P_SX_SY_NST_IJLi5ELi6ELi7EEEENST_IJLi8ELi9ELi10EEEEEEENST_IJLi5ELi6ELi7ELi8ELi9ELi10EEEElEEEEES35_NS_31BlockToCTileMap_M00_N00_M01_N01ILi128ELi128ES1Y_Lb0EEENS1_30ComputePtrOffsetOfStridedBatchILi1ELi1ELi1EvEELb0ELb0EEEvPKT0_S3D_T1_PT2_T3_T4_T5_iT6_T7_T8_T9_T10_T11_.uses_vcc, 1
	.set _ZN2ck16tensor_operation6device12_GLOBAL__N_137kernel_grouped_conv_fwd_dl_multiple_dINS_32GridwiseGemmDlMultipleD_km_kn_mnILi256EDF16_fNS_5TupleIJDF16_EEEDF16_NS0_12element_wise11PassThroughES8_NS7_7AddReluELNS_25InMemoryDataOperationEnumE0ENS_16TensorDescriptorINS5_IJNS_5EmbedINS5_IJiiiiiEEESD_Lb0EEENS_11PassThroughIiEENS_3PadIiiiLb0EEESI_SI_SG_SG_NSC_INS5_IJiiEEESJ_Lb0EEESK_SK_SG_NS_23Merge_v2_magic_divisionINS5_IJiiiiEEEEESN_NS_8RightPadIiiLb0EEESP_NS_7UnMergeISJ_Lb0EEESG_EEENS5_IJNS_8SequenceIJLi0EEEENST_IJLi1EEEENST_IJLi2EEEENST_IJLi3EEEENST_IJLi4EEEENST_IJLi5EEEENST_IJLi6EEEENST_IJLi7EEEENST_IJLi8EEEENST_IJLi9EEEENST_IJLi10EEEENST_IJLi11ELi13ELi15ELi17EEEENST_IJLi12ELi14ELi16ELi18EEEENST_IJLi19EEEENST_IJLi20EEEENST_IJLi22EEEENST_IJLi21EEEEEEENS5_IJNST_IJLi1ELi2ELi3ELi4ELi5EEEES10_S11_S12_S13_S14_NST_IJLi11EEEENST_IJLi12ELi13EEEENST_IJLi14ELi15EEEENST_IJLi16ELi17EEEENST_IJLi18EEEES17_S18_S1A_S19_NST_IJLi23ELi24EEEENST_IJLi25EEEEEEENST_IJLi23ELi25ELi24EEEElEENSB_INS5_IJSR_SP_SP_SR_SG_EEENS5_IJSU_SV_SW_SY_SX_EEENS5_IJNST_IJLi1ELi2EEEESX_SY_NST_IJLi5ELi6EEEES11_EEENST_IJLi5ELi7ELi6EEEElEENSB_INS5_IJSK_SP_SP_EEENS5_IJSU_SV_SW_EEENS5_IJS1P_SX_SY_EEENST_IJLi3ELi4EEEElEELi128ELi128ELi16ELi2ELi4ELi4ELi1ENST_IJLi8ELi2EEEES1Z_NST_IJLi8ELi1ELi1ELi2EEEENST_IJLi2ELi1ELi128ELi1EEEENST_IJLi1ELi2ELi0ELi3EEEES22_NST_IJLi4ELi1ELi1ELi2EEEES22_NST_IJLi1ELi1ELi1ELi2EEEES20_S21_S22_S22_S23_S22_S24_NST_IJLi0ELi1ELi2ELi3ELi4ELi5EEEELi5ELi4EEEDF16_NS5_IJPKDF16_EEEDF16_S8_S8_S9_NSB_INS5_IJSE_SG_SI_SI_SI_SG_SG_SK_SK_SK_SG_SN_SN_SP_SP_SR_SG_SG_NSQ_INS5_IJiNS_17integral_constantIiLi128EEEEEELb0EEENSF_INS2A_IiLi2EEEEEEEENS5_IJSU_SV_SW_SX_SY_SZ_S10_S11_S12_S13_S14_S15_S16_S17_S18_S19_S1A_NST_IJLi23EEEES1J_NST_IJLi24EEEEEEENS5_IJS1C_S10_S11_S12_S13_S14_S1D_S1E_S1F_S1G_S1H_S17_S18_S1A_S19_S1I_S1J_NST_IJLi26EEEENST_IJLi27ELi28EEEENST_IJLi29EEEEEEENST_IJLi26ELi27ELi28ELi29EEEElEENSB_INS5_IJSR_SP_SP_SR_SG_SG_S2D_S2F_EEENS5_IJSU_SV_SW_SY_SX_SZ_S11_S10_EEENS5_IJS1P_SX_SY_S1Q_S11_S12_NST_IJLi9ELi10EEEES1D_EEENST_IJLi8ELi9ELi10ELi11EEEElEENS5_IJNSB_INS5_IJSK_SP_SP_NSQ_INS5_IJiS2E_NS2A_IiLi64EEEEEELb0EEES2Y_EEENS5_IJSU_SV_SW_SX_SY_EEENS5_IJS1P_SX_SY_NST_IJLi5ELi6ELi7EEEENST_IJLi8ELi9ELi10EEEEEEENST_IJLi5ELi6ELi7ELi8ELi9ELi10EEEElEEEEES35_NS_31BlockToCTileMap_M00_N00_M01_N01ILi128ELi128ES1Y_Lb0EEENS1_30ComputePtrOffsetOfStridedBatchILi1ELi1ELi1EvEELb0ELb0EEEvPKT0_S3D_T1_PT2_T3_T4_T5_iT6_T7_T8_T9_T10_T11_.uses_flat_scratch, 0
	.set _ZN2ck16tensor_operation6device12_GLOBAL__N_137kernel_grouped_conv_fwd_dl_multiple_dINS_32GridwiseGemmDlMultipleD_km_kn_mnILi256EDF16_fNS_5TupleIJDF16_EEEDF16_NS0_12element_wise11PassThroughES8_NS7_7AddReluELNS_25InMemoryDataOperationEnumE0ENS_16TensorDescriptorINS5_IJNS_5EmbedINS5_IJiiiiiEEESD_Lb0EEENS_11PassThroughIiEENS_3PadIiiiLb0EEESI_SI_SG_SG_NSC_INS5_IJiiEEESJ_Lb0EEESK_SK_SG_NS_23Merge_v2_magic_divisionINS5_IJiiiiEEEEESN_NS_8RightPadIiiLb0EEESP_NS_7UnMergeISJ_Lb0EEESG_EEENS5_IJNS_8SequenceIJLi0EEEENST_IJLi1EEEENST_IJLi2EEEENST_IJLi3EEEENST_IJLi4EEEENST_IJLi5EEEENST_IJLi6EEEENST_IJLi7EEEENST_IJLi8EEEENST_IJLi9EEEENST_IJLi10EEEENST_IJLi11ELi13ELi15ELi17EEEENST_IJLi12ELi14ELi16ELi18EEEENST_IJLi19EEEENST_IJLi20EEEENST_IJLi22EEEENST_IJLi21EEEEEEENS5_IJNST_IJLi1ELi2ELi3ELi4ELi5EEEES10_S11_S12_S13_S14_NST_IJLi11EEEENST_IJLi12ELi13EEEENST_IJLi14ELi15EEEENST_IJLi16ELi17EEEENST_IJLi18EEEES17_S18_S1A_S19_NST_IJLi23ELi24EEEENST_IJLi25EEEEEEENST_IJLi23ELi25ELi24EEEElEENSB_INS5_IJSR_SP_SP_SR_SG_EEENS5_IJSU_SV_SW_SY_SX_EEENS5_IJNST_IJLi1ELi2EEEESX_SY_NST_IJLi5ELi6EEEES11_EEENST_IJLi5ELi7ELi6EEEElEENSB_INS5_IJSK_SP_SP_EEENS5_IJSU_SV_SW_EEENS5_IJS1P_SX_SY_EEENST_IJLi3ELi4EEEElEELi128ELi128ELi16ELi2ELi4ELi4ELi1ENST_IJLi8ELi2EEEES1Z_NST_IJLi8ELi1ELi1ELi2EEEENST_IJLi2ELi1ELi128ELi1EEEENST_IJLi1ELi2ELi0ELi3EEEES22_NST_IJLi4ELi1ELi1ELi2EEEES22_NST_IJLi1ELi1ELi1ELi2EEEES20_S21_S22_S22_S23_S22_S24_NST_IJLi0ELi1ELi2ELi3ELi4ELi5EEEELi5ELi4EEEDF16_NS5_IJPKDF16_EEEDF16_S8_S8_S9_NSB_INS5_IJSE_SG_SI_SI_SI_SG_SG_SK_SK_SK_SG_SN_SN_SP_SP_SR_SG_SG_NSQ_INS5_IJiNS_17integral_constantIiLi128EEEEEELb0EEENSF_INS2A_IiLi2EEEEEEEENS5_IJSU_SV_SW_SX_SY_SZ_S10_S11_S12_S13_S14_S15_S16_S17_S18_S19_S1A_NST_IJLi23EEEES1J_NST_IJLi24EEEEEEENS5_IJS1C_S10_S11_S12_S13_S14_S1D_S1E_S1F_S1G_S1H_S17_S18_S1A_S19_S1I_S1J_NST_IJLi26EEEENST_IJLi27ELi28EEEENST_IJLi29EEEEEEENST_IJLi26ELi27ELi28ELi29EEEElEENSB_INS5_IJSR_SP_SP_SR_SG_SG_S2D_S2F_EEENS5_IJSU_SV_SW_SY_SX_SZ_S11_S10_EEENS5_IJS1P_SX_SY_S1Q_S11_S12_NST_IJLi9ELi10EEEES1D_EEENST_IJLi8ELi9ELi10ELi11EEEElEENS5_IJNSB_INS5_IJSK_SP_SP_NSQ_INS5_IJiS2E_NS2A_IiLi64EEEEEELb0EEES2Y_EEENS5_IJSU_SV_SW_SX_SY_EEENS5_IJS1P_SX_SY_NST_IJLi5ELi6ELi7EEEENST_IJLi8ELi9ELi10EEEEEEENST_IJLi5ELi6ELi7ELi8ELi9ELi10EEEElEEEEES35_NS_31BlockToCTileMap_M00_N00_M01_N01ILi128ELi128ES1Y_Lb0EEENS1_30ComputePtrOffsetOfStridedBatchILi1ELi1ELi1EvEELb0ELb0EEEvPKT0_S3D_T1_PT2_T3_T4_T5_iT6_T7_T8_T9_T10_T11_.has_dyn_sized_stack, 0
	.set _ZN2ck16tensor_operation6device12_GLOBAL__N_137kernel_grouped_conv_fwd_dl_multiple_dINS_32GridwiseGemmDlMultipleD_km_kn_mnILi256EDF16_fNS_5TupleIJDF16_EEEDF16_NS0_12element_wise11PassThroughES8_NS7_7AddReluELNS_25InMemoryDataOperationEnumE0ENS_16TensorDescriptorINS5_IJNS_5EmbedINS5_IJiiiiiEEESD_Lb0EEENS_11PassThroughIiEENS_3PadIiiiLb0EEESI_SI_SG_SG_NSC_INS5_IJiiEEESJ_Lb0EEESK_SK_SG_NS_23Merge_v2_magic_divisionINS5_IJiiiiEEEEESN_NS_8RightPadIiiLb0EEESP_NS_7UnMergeISJ_Lb0EEESG_EEENS5_IJNS_8SequenceIJLi0EEEENST_IJLi1EEEENST_IJLi2EEEENST_IJLi3EEEENST_IJLi4EEEENST_IJLi5EEEENST_IJLi6EEEENST_IJLi7EEEENST_IJLi8EEEENST_IJLi9EEEENST_IJLi10EEEENST_IJLi11ELi13ELi15ELi17EEEENST_IJLi12ELi14ELi16ELi18EEEENST_IJLi19EEEENST_IJLi20EEEENST_IJLi22EEEENST_IJLi21EEEEEEENS5_IJNST_IJLi1ELi2ELi3ELi4ELi5EEEES10_S11_S12_S13_S14_NST_IJLi11EEEENST_IJLi12ELi13EEEENST_IJLi14ELi15EEEENST_IJLi16ELi17EEEENST_IJLi18EEEES17_S18_S1A_S19_NST_IJLi23ELi24EEEENST_IJLi25EEEEEEENST_IJLi23ELi25ELi24EEEElEENSB_INS5_IJSR_SP_SP_SR_SG_EEENS5_IJSU_SV_SW_SY_SX_EEENS5_IJNST_IJLi1ELi2EEEESX_SY_NST_IJLi5ELi6EEEES11_EEENST_IJLi5ELi7ELi6EEEElEENSB_INS5_IJSK_SP_SP_EEENS5_IJSU_SV_SW_EEENS5_IJS1P_SX_SY_EEENST_IJLi3ELi4EEEElEELi128ELi128ELi16ELi2ELi4ELi4ELi1ENST_IJLi8ELi2EEEES1Z_NST_IJLi8ELi1ELi1ELi2EEEENST_IJLi2ELi1ELi128ELi1EEEENST_IJLi1ELi2ELi0ELi3EEEES22_NST_IJLi4ELi1ELi1ELi2EEEES22_NST_IJLi1ELi1ELi1ELi2EEEES20_S21_S22_S22_S23_S22_S24_NST_IJLi0ELi1ELi2ELi3ELi4ELi5EEEELi5ELi4EEEDF16_NS5_IJPKDF16_EEEDF16_S8_S8_S9_NSB_INS5_IJSE_SG_SI_SI_SI_SG_SG_SK_SK_SK_SG_SN_SN_SP_SP_SR_SG_SG_NSQ_INS5_IJiNS_17integral_constantIiLi128EEEEEELb0EEENSF_INS2A_IiLi2EEEEEEEENS5_IJSU_SV_SW_SX_SY_SZ_S10_S11_S12_S13_S14_S15_S16_S17_S18_S19_S1A_NST_IJLi23EEEES1J_NST_IJLi24EEEEEEENS5_IJS1C_S10_S11_S12_S13_S14_S1D_S1E_S1F_S1G_S1H_S17_S18_S1A_S19_S1I_S1J_NST_IJLi26EEEENST_IJLi27ELi28EEEENST_IJLi29EEEEEEENST_IJLi26ELi27ELi28ELi29EEEElEENSB_INS5_IJSR_SP_SP_SR_SG_SG_S2D_S2F_EEENS5_IJSU_SV_SW_SY_SX_SZ_S11_S10_EEENS5_IJS1P_SX_SY_S1Q_S11_S12_NST_IJLi9ELi10EEEES1D_EEENST_IJLi8ELi9ELi10ELi11EEEElEENS5_IJNSB_INS5_IJSK_SP_SP_NSQ_INS5_IJiS2E_NS2A_IiLi64EEEEEELb0EEES2Y_EEENS5_IJSU_SV_SW_SX_SY_EEENS5_IJS1P_SX_SY_NST_IJLi5ELi6ELi7EEEENST_IJLi8ELi9ELi10EEEEEEENST_IJLi5ELi6ELi7ELi8ELi9ELi10EEEElEEEEES35_NS_31BlockToCTileMap_M00_N00_M01_N01ILi128ELi128ES1Y_Lb0EEENS1_30ComputePtrOffsetOfStridedBatchILi1ELi1ELi1EvEELb0ELb0EEEvPKT0_S3D_T1_PT2_T3_T4_T5_iT6_T7_T8_T9_T10_T11_.has_recursion, 0
	.set _ZN2ck16tensor_operation6device12_GLOBAL__N_137kernel_grouped_conv_fwd_dl_multiple_dINS_32GridwiseGemmDlMultipleD_km_kn_mnILi256EDF16_fNS_5TupleIJDF16_EEEDF16_NS0_12element_wise11PassThroughES8_NS7_7AddReluELNS_25InMemoryDataOperationEnumE0ENS_16TensorDescriptorINS5_IJNS_5EmbedINS5_IJiiiiiEEESD_Lb0EEENS_11PassThroughIiEENS_3PadIiiiLb0EEESI_SI_SG_SG_NSC_INS5_IJiiEEESJ_Lb0EEESK_SK_SG_NS_23Merge_v2_magic_divisionINS5_IJiiiiEEEEESN_NS_8RightPadIiiLb0EEESP_NS_7UnMergeISJ_Lb0EEESG_EEENS5_IJNS_8SequenceIJLi0EEEENST_IJLi1EEEENST_IJLi2EEEENST_IJLi3EEEENST_IJLi4EEEENST_IJLi5EEEENST_IJLi6EEEENST_IJLi7EEEENST_IJLi8EEEENST_IJLi9EEEENST_IJLi10EEEENST_IJLi11ELi13ELi15ELi17EEEENST_IJLi12ELi14ELi16ELi18EEEENST_IJLi19EEEENST_IJLi20EEEENST_IJLi22EEEENST_IJLi21EEEEEEENS5_IJNST_IJLi1ELi2ELi3ELi4ELi5EEEES10_S11_S12_S13_S14_NST_IJLi11EEEENST_IJLi12ELi13EEEENST_IJLi14ELi15EEEENST_IJLi16ELi17EEEENST_IJLi18EEEES17_S18_S1A_S19_NST_IJLi23ELi24EEEENST_IJLi25EEEEEEENST_IJLi23ELi25ELi24EEEElEENSB_INS5_IJSR_SP_SP_SR_SG_EEENS5_IJSU_SV_SW_SY_SX_EEENS5_IJNST_IJLi1ELi2EEEESX_SY_NST_IJLi5ELi6EEEES11_EEENST_IJLi5ELi7ELi6EEEElEENSB_INS5_IJSK_SP_SP_EEENS5_IJSU_SV_SW_EEENS5_IJS1P_SX_SY_EEENST_IJLi3ELi4EEEElEELi128ELi128ELi16ELi2ELi4ELi4ELi1ENST_IJLi8ELi2EEEES1Z_NST_IJLi8ELi1ELi1ELi2EEEENST_IJLi2ELi1ELi128ELi1EEEENST_IJLi1ELi2ELi0ELi3EEEES22_NST_IJLi4ELi1ELi1ELi2EEEES22_NST_IJLi1ELi1ELi1ELi2EEEES20_S21_S22_S22_S23_S22_S24_NST_IJLi0ELi1ELi2ELi3ELi4ELi5EEEELi5ELi4EEEDF16_NS5_IJPKDF16_EEEDF16_S8_S8_S9_NSB_INS5_IJSE_SG_SI_SI_SI_SG_SG_SK_SK_SK_SG_SN_SN_SP_SP_SR_SG_SG_NSQ_INS5_IJiNS_17integral_constantIiLi128EEEEEELb0EEENSF_INS2A_IiLi2EEEEEEEENS5_IJSU_SV_SW_SX_SY_SZ_S10_S11_S12_S13_S14_S15_S16_S17_S18_S19_S1A_NST_IJLi23EEEES1J_NST_IJLi24EEEEEEENS5_IJS1C_S10_S11_S12_S13_S14_S1D_S1E_S1F_S1G_S1H_S17_S18_S1A_S19_S1I_S1J_NST_IJLi26EEEENST_IJLi27ELi28EEEENST_IJLi29EEEEEEENST_IJLi26ELi27ELi28ELi29EEEElEENSB_INS5_IJSR_SP_SP_SR_SG_SG_S2D_S2F_EEENS5_IJSU_SV_SW_SY_SX_SZ_S11_S10_EEENS5_IJS1P_SX_SY_S1Q_S11_S12_NST_IJLi9ELi10EEEES1D_EEENST_IJLi8ELi9ELi10ELi11EEEElEENS5_IJNSB_INS5_IJSK_SP_SP_NSQ_INS5_IJiS2E_NS2A_IiLi64EEEEEELb0EEES2Y_EEENS5_IJSU_SV_SW_SX_SY_EEENS5_IJS1P_SX_SY_NST_IJLi5ELi6ELi7EEEENST_IJLi8ELi9ELi10EEEEEEENST_IJLi5ELi6ELi7ELi8ELi9ELi10EEEElEEEEES35_NS_31BlockToCTileMap_M00_N00_M01_N01ILi128ELi128ES1Y_Lb0EEENS1_30ComputePtrOffsetOfStridedBatchILi1ELi1ELi1EvEELb0ELb0EEEvPKT0_S3D_T1_PT2_T3_T4_T5_iT6_T7_T8_T9_T10_T11_.has_indirect_call, 0
	.section	.AMDGPU.csdata,"",@progbits
; Kernel info:
; codeLenInByte = 9852
; TotalNumSgprs: 78
; NumVgprs: 124
; ScratchSize: 0
; MemoryBound: 0
; FloatMode: 240
; IeeeMode: 1
; LDSByteSize: 32768 bytes/workgroup (compile time only)
; SGPRBlocks: 0
; VGPRBlocks: 15
; NumSGPRsForWavesPerEU: 78
; NumVGPRsForWavesPerEU: 124
; Occupancy: 8
; WaveLimiterHint : 0
; COMPUTE_PGM_RSRC2:SCRATCH_EN: 0
; COMPUTE_PGM_RSRC2:USER_SGPR: 6
; COMPUTE_PGM_RSRC2:TRAP_HANDLER: 0
; COMPUTE_PGM_RSRC2:TGID_X_EN: 1
; COMPUTE_PGM_RSRC2:TGID_Y_EN: 0
; COMPUTE_PGM_RSRC2:TGID_Z_EN: 0
; COMPUTE_PGM_RSRC2:TIDIG_COMP_CNT: 0
	.section	.AMDGPU.gpr_maximums,"",@progbits
	.set amdgpu.max_num_vgpr, 0
	.set amdgpu.max_num_agpr, 0
	.set amdgpu.max_num_sgpr, 0
	.section	.AMDGPU.csdata,"",@progbits
	.type	__hip_cuid_8cd343b8ceeb2020,@object ; @__hip_cuid_8cd343b8ceeb2020
	.section	.bss,"aw",@nobits
	.globl	__hip_cuid_8cd343b8ceeb2020
__hip_cuid_8cd343b8ceeb2020:
	.byte	0                               ; 0x0
	.size	__hip_cuid_8cd343b8ceeb2020, 1

	.ident	"AMD clang version 22.0.0git (https://github.com/RadeonOpenCompute/llvm-project roc-7.2.4 26084 f58b06dce1f9c15707c5f808fd002e18c2accf7e)"
	.section	".note.GNU-stack","",@progbits
	.addrsig
	.addrsig_sym __hip_cuid_8cd343b8ceeb2020
	.amdgpu_metadata
---
amdhsa.kernels:
  - .args:           []
    .group_segment_fixed_size: 0
    .kernarg_segment_align: 4
    .kernarg_segment_size: 0
    .language:       OpenCL C
    .language_version:
      - 2
      - 0
    .max_flat_workgroup_size: 1024
    .name:           _ZN2ckL12flush_icacheEv
    .private_segment_fixed_size: 0
    .sgpr_count:     0
    .sgpr_spill_count: 0
    .symbol:         _ZN2ckL12flush_icacheEv.kd
    .uniform_work_group_size: 1
    .uses_dynamic_stack: false
    .vgpr_count:     0
    .vgpr_spill_count: 0
    .wavefront_size: 32
    .workgroup_processor_mode: 1
  - .args:
      - .actual_access:  read_only
        .address_space:  global
        .offset:         0
        .size:           8
        .value_kind:     global_buffer
      - .actual_access:  read_only
        .address_space:  global
        .offset:         8
        .size:           8
        .value_kind:     global_buffer
      - .address_space:  global
        .offset:         16
        .size:           8
        .value_kind:     global_buffer
      - .actual_access:  write_only
        .address_space:  global
        .offset:         24
        .size:           8
        .value_kind:     global_buffer
      - .offset:         32
        .size:           1
        .value_kind:     by_value
      - .offset:         33
        .size:           1
        .value_kind:     by_value
      - .offset:         34
        .size:           1
        .value_kind:     by_value
      - .offset:         36
        .size:           4
        .value_kind:     by_value
      - .offset:         40
        .size:           200
        .value_kind:     by_value
      - .offset:         240
        .size:           96
        .value_kind:     by_value
      - .offset:         336
        .size:           80
        .value_kind:     by_value
      - .offset:         416
        .size:           80
        .value_kind:     by_value
      - .offset:         496
        .size:           112
        .value_kind:     by_value
      - .offset:         608
        .size:           40
        .value_kind:     by_value
      - .offset:         648
        .size:           4
        .value_kind:     hidden_block_count_x
      - .offset:         652
        .size:           4
        .value_kind:     hidden_block_count_y
      - .offset:         656
        .size:           4
        .value_kind:     hidden_block_count_z
      - .offset:         660
        .size:           2
        .value_kind:     hidden_group_size_x
      - .offset:         662
        .size:           2
        .value_kind:     hidden_group_size_y
      - .offset:         664
        .size:           2
        .value_kind:     hidden_group_size_z
      - .offset:         666
        .size:           2
        .value_kind:     hidden_remainder_x
      - .offset:         668
        .size:           2
        .value_kind:     hidden_remainder_y
      - .offset:         670
        .size:           2
        .value_kind:     hidden_remainder_z
      - .offset:         688
        .size:           8
        .value_kind:     hidden_global_offset_x
      - .offset:         696
        .size:           8
        .value_kind:     hidden_global_offset_y
      - .offset:         704
        .size:           8
        .value_kind:     hidden_global_offset_z
      - .offset:         712
        .size:           2
        .value_kind:     hidden_grid_dims
    .group_segment_fixed_size: 32768
    .kernarg_segment_align: 8
    .kernarg_segment_size: 904
    .language:       OpenCL C
    .language_version:
      - 2
      - 0
    .max_flat_workgroup_size: 256
    .name:           _ZN2ck16tensor_operation6device12_GLOBAL__N_137kernel_grouped_conv_fwd_dl_multiple_dINS_32GridwiseGemmDlMultipleD_km_kn_mnILi256EDF16_fNS_5TupleIJDF16_EEEDF16_NS0_12element_wise11PassThroughES8_NS7_7AddReluELNS_25InMemoryDataOperationEnumE0ENS_16TensorDescriptorINS5_IJNS_5EmbedINS5_IJiiiEEESD_Lb0EEENS_11PassThroughIiEENS_3PadIiiiLb0EEESG_SG_NSC_INS5_IJiiEEESJ_Lb0EEESG_NS_23Merge_v2_magic_divisionISJ_EESM_NS_8RightPadIiiLb0EEESO_NS_7UnMergeISJ_Lb0EEESG_EEENS5_IJNS_8SequenceIJLi0EEEENSS_IJLi1EEEENSS_IJLi2EEEENSS_IJLi3EEEENSS_IJLi4EEEENSS_IJLi5EEEENSS_IJLi6EEEENSS_IJLi7ELi9EEEENSS_IJLi8ELi10EEEENSS_IJLi11EEEENSS_IJLi12EEEENSS_IJLi14EEEENSS_IJLi13EEEEEEENS5_IJNSS_IJLi1ELi2ELi3EEEESX_SY_SZ_NSS_IJLi7EEEENSS_IJLi8ELi9EEEENSS_IJLi10EEEES12_S13_S15_S14_NSS_IJLi15ELi16EEEENSS_IJLi17EEEEEEENSS_IJLi15ELi17ELi16EEEElEENSB_INS5_IJSQ_SO_SO_SQ_SG_EEENS5_IJST_SU_SV_SX_SW_EEENS5_IJNSS_IJLi1ELi2EEEESW_SX_NSS_IJLi5ELi6EEEES18_EEENSS_IJLi5ELi7ELi6EEEElEENSB_INS5_IJSK_SO_SO_EEENS5_IJST_SU_SV_EEENS5_IJS1I_SW_SX_EEENSS_IJLi3ELi4EEEElEELi128ELi128ELi16ELi2ELi4ELi4ELi1ENSS_IJLi8ELi2EEEES1S_NSS_IJLi8ELi1ELi1ELi2EEEENSS_IJLi2ELi1ELi128ELi1EEEENSS_IJLi1ELi2ELi0ELi3EEEES1V_NSS_IJLi4ELi1ELi1ELi2EEEES1V_NSS_IJLi1ELi1ELi1ELi2EEEES1T_S1U_S1V_S1V_S1W_S1V_S1X_NSS_IJLi0ELi1ELi2ELi3ELi4ELi5EEEELi5ELi4EEEDF16_NS5_IJPKDF16_EEEDF16_S8_S8_S9_NSB_INS5_IJSE_SG_SI_SG_SG_SK_SG_SM_SM_SO_SO_SQ_SG_SG_NSP_INS5_IJiNS_17integral_constantIiLi128EEEEEELb0EEENSF_INS23_IiLi2EEEEEEEENS5_IJST_SU_SV_SW_SX_SY_SZ_S10_S11_S12_S13_S14_S15_NSS_IJLi15EEEES1C_NSS_IJLi16EEEEEEENS5_IJS17_SX_SY_SZ_S18_S19_S1A_S12_S13_S15_S14_S1B_S1C_NSS_IJLi18EEEENSS_IJLi19ELi20EEEENSS_IJLi21EEEEEEENSS_IJLi18ELi19ELi20ELi21EEEElEENSB_INS5_IJSQ_SO_SO_SQ_SG_SG_S26_S28_EEENS5_IJST_SU_SV_SX_SW_SY_S18_SZ_EEENS5_IJS1I_SW_SX_S1J_S18_NSS_IJLi8EEEENSS_IJLi9ELi10EEEES12_EEENSS_IJLi8ELi9ELi10ELi11EEEElEENS5_IJNSB_INS5_IJSK_SO_SO_NSP_INS5_IJiS27_NS23_IiLi64EEEEEELb0EEES2S_EEENS5_IJST_SU_SV_SW_SX_EEENS5_IJS1I_SW_SX_NSS_IJLi5ELi6ELi7EEEENSS_IJLi8ELi9ELi10EEEEEEENSS_IJLi5ELi6ELi7ELi8ELi9ELi10EEEElEEEEES2Z_NS_31BlockToCTileMap_M00_N00_M01_N01ILi128ELi128ES1R_Lb0EEENS1_30ComputePtrOffsetOfStridedBatchILi1ELi1ELi1EvEELb1ELb1EEEvPKT0_S37_T1_PT2_T3_T4_T5_iT6_T7_T8_T9_T10_T11_
    .private_segment_fixed_size: 0
    .sgpr_count:     64
    .sgpr_spill_count: 0
    .symbol:         _ZN2ck16tensor_operation6device12_GLOBAL__N_137kernel_grouped_conv_fwd_dl_multiple_dINS_32GridwiseGemmDlMultipleD_km_kn_mnILi256EDF16_fNS_5TupleIJDF16_EEEDF16_NS0_12element_wise11PassThroughES8_NS7_7AddReluELNS_25InMemoryDataOperationEnumE0ENS_16TensorDescriptorINS5_IJNS_5EmbedINS5_IJiiiEEESD_Lb0EEENS_11PassThroughIiEENS_3PadIiiiLb0EEESG_SG_NSC_INS5_IJiiEEESJ_Lb0EEESG_NS_23Merge_v2_magic_divisionISJ_EESM_NS_8RightPadIiiLb0EEESO_NS_7UnMergeISJ_Lb0EEESG_EEENS5_IJNS_8SequenceIJLi0EEEENSS_IJLi1EEEENSS_IJLi2EEEENSS_IJLi3EEEENSS_IJLi4EEEENSS_IJLi5EEEENSS_IJLi6EEEENSS_IJLi7ELi9EEEENSS_IJLi8ELi10EEEENSS_IJLi11EEEENSS_IJLi12EEEENSS_IJLi14EEEENSS_IJLi13EEEEEEENS5_IJNSS_IJLi1ELi2ELi3EEEESX_SY_SZ_NSS_IJLi7EEEENSS_IJLi8ELi9EEEENSS_IJLi10EEEES12_S13_S15_S14_NSS_IJLi15ELi16EEEENSS_IJLi17EEEEEEENSS_IJLi15ELi17ELi16EEEElEENSB_INS5_IJSQ_SO_SO_SQ_SG_EEENS5_IJST_SU_SV_SX_SW_EEENS5_IJNSS_IJLi1ELi2EEEESW_SX_NSS_IJLi5ELi6EEEES18_EEENSS_IJLi5ELi7ELi6EEEElEENSB_INS5_IJSK_SO_SO_EEENS5_IJST_SU_SV_EEENS5_IJS1I_SW_SX_EEENSS_IJLi3ELi4EEEElEELi128ELi128ELi16ELi2ELi4ELi4ELi1ENSS_IJLi8ELi2EEEES1S_NSS_IJLi8ELi1ELi1ELi2EEEENSS_IJLi2ELi1ELi128ELi1EEEENSS_IJLi1ELi2ELi0ELi3EEEES1V_NSS_IJLi4ELi1ELi1ELi2EEEES1V_NSS_IJLi1ELi1ELi1ELi2EEEES1T_S1U_S1V_S1V_S1W_S1V_S1X_NSS_IJLi0ELi1ELi2ELi3ELi4ELi5EEEELi5ELi4EEEDF16_NS5_IJPKDF16_EEEDF16_S8_S8_S9_NSB_INS5_IJSE_SG_SI_SG_SG_SK_SG_SM_SM_SO_SO_SQ_SG_SG_NSP_INS5_IJiNS_17integral_constantIiLi128EEEEEELb0EEENSF_INS23_IiLi2EEEEEEEENS5_IJST_SU_SV_SW_SX_SY_SZ_S10_S11_S12_S13_S14_S15_NSS_IJLi15EEEES1C_NSS_IJLi16EEEEEEENS5_IJS17_SX_SY_SZ_S18_S19_S1A_S12_S13_S15_S14_S1B_S1C_NSS_IJLi18EEEENSS_IJLi19ELi20EEEENSS_IJLi21EEEEEEENSS_IJLi18ELi19ELi20ELi21EEEElEENSB_INS5_IJSQ_SO_SO_SQ_SG_SG_S26_S28_EEENS5_IJST_SU_SV_SX_SW_SY_S18_SZ_EEENS5_IJS1I_SW_SX_S1J_S18_NSS_IJLi8EEEENSS_IJLi9ELi10EEEES12_EEENSS_IJLi8ELi9ELi10ELi11EEEElEENS5_IJNSB_INS5_IJSK_SO_SO_NSP_INS5_IJiS27_NS23_IiLi64EEEEEELb0EEES2S_EEENS5_IJST_SU_SV_SW_SX_EEENS5_IJS1I_SW_SX_NSS_IJLi5ELi6ELi7EEEENSS_IJLi8ELi9ELi10EEEEEEENSS_IJLi5ELi6ELi7ELi8ELi9ELi10EEEElEEEEES2Z_NS_31BlockToCTileMap_M00_N00_M01_N01ILi128ELi128ES1R_Lb0EEENS1_30ComputePtrOffsetOfStridedBatchILi1ELi1ELi1EvEELb1ELb1EEEvPKT0_S37_T1_PT2_T3_T4_T5_iT6_T7_T8_T9_T10_T11_.kd
    .uniform_work_group_size: 1
    .uses_dynamic_stack: false
    .vgpr_count:     128
    .vgpr_spill_count: 0
    .wavefront_size: 32
    .workgroup_processor_mode: 1
  - .args:
      - .actual_access:  read_only
        .address_space:  global
        .offset:         0
        .size:           8
        .value_kind:     global_buffer
      - .actual_access:  read_only
        .address_space:  global
        .offset:         8
        .size:           8
        .value_kind:     global_buffer
      - .address_space:  global
        .offset:         16
        .size:           8
        .value_kind:     global_buffer
      - .actual_access:  write_only
        .address_space:  global
        .offset:         24
        .size:           8
        .value_kind:     global_buffer
      - .offset:         32
        .size:           1
        .value_kind:     by_value
      - .offset:         33
        .size:           1
        .value_kind:     by_value
      - .offset:         34
        .size:           1
        .value_kind:     by_value
      - .offset:         36
        .size:           4
        .value_kind:     by_value
      - .offset:         40
        .size:           200
        .value_kind:     by_value
      - .offset:         240
        .size:           96
        .value_kind:     by_value
      - .offset:         336
        .size:           80
        .value_kind:     by_value
      - .offset:         416
        .size:           80
        .value_kind:     by_value
      - .offset:         496
        .size:           112
        .value_kind:     by_value
      - .offset:         608
        .size:           40
        .value_kind:     by_value
      - .offset:         648
        .size:           4
        .value_kind:     hidden_block_count_x
      - .offset:         652
        .size:           4
        .value_kind:     hidden_block_count_y
      - .offset:         656
        .size:           4
        .value_kind:     hidden_block_count_z
      - .offset:         660
        .size:           2
        .value_kind:     hidden_group_size_x
      - .offset:         662
        .size:           2
        .value_kind:     hidden_group_size_y
      - .offset:         664
        .size:           2
        .value_kind:     hidden_group_size_z
      - .offset:         666
        .size:           2
        .value_kind:     hidden_remainder_x
      - .offset:         668
        .size:           2
        .value_kind:     hidden_remainder_y
      - .offset:         670
        .size:           2
        .value_kind:     hidden_remainder_z
      - .offset:         688
        .size:           8
        .value_kind:     hidden_global_offset_x
      - .offset:         696
        .size:           8
        .value_kind:     hidden_global_offset_y
      - .offset:         704
        .size:           8
        .value_kind:     hidden_global_offset_z
      - .offset:         712
        .size:           2
        .value_kind:     hidden_grid_dims
    .group_segment_fixed_size: 32768
    .kernarg_segment_align: 8
    .kernarg_segment_size: 904
    .language:       OpenCL C
    .language_version:
      - 2
      - 0
    .max_flat_workgroup_size: 256
    .name:           _ZN2ck16tensor_operation6device12_GLOBAL__N_137kernel_grouped_conv_fwd_dl_multiple_dINS_32GridwiseGemmDlMultipleD_km_kn_mnILi256EDF16_fNS_5TupleIJDF16_EEEDF16_NS0_12element_wise11PassThroughES8_NS7_7AddReluELNS_25InMemoryDataOperationEnumE0ENS_16TensorDescriptorINS5_IJNS_5EmbedINS5_IJiiiEEESD_Lb0EEENS_11PassThroughIiEENS_3PadIiiiLb0EEESG_SG_NSC_INS5_IJiiEEESJ_Lb0EEESG_NS_23Merge_v2_magic_divisionISJ_EESM_NS_8RightPadIiiLb0EEESO_NS_7UnMergeISJ_Lb0EEESG_EEENS5_IJNS_8SequenceIJLi0EEEENSS_IJLi1EEEENSS_IJLi2EEEENSS_IJLi3EEEENSS_IJLi4EEEENSS_IJLi5EEEENSS_IJLi6EEEENSS_IJLi7ELi9EEEENSS_IJLi8ELi10EEEENSS_IJLi11EEEENSS_IJLi12EEEENSS_IJLi14EEEENSS_IJLi13EEEEEEENS5_IJNSS_IJLi1ELi2ELi3EEEESX_SY_SZ_NSS_IJLi7EEEENSS_IJLi8ELi9EEEENSS_IJLi10EEEES12_S13_S15_S14_NSS_IJLi15ELi16EEEENSS_IJLi17EEEEEEENSS_IJLi15ELi17ELi16EEEElEENSB_INS5_IJSQ_SO_SO_SQ_SG_EEENS5_IJST_SU_SV_SX_SW_EEENS5_IJNSS_IJLi1ELi2EEEESW_SX_NSS_IJLi5ELi6EEEES18_EEENSS_IJLi5ELi7ELi6EEEElEENSB_INS5_IJSK_SO_SO_EEENS5_IJST_SU_SV_EEENS5_IJS1I_SW_SX_EEENSS_IJLi3ELi4EEEElEELi128ELi128ELi16ELi2ELi4ELi4ELi1ENSS_IJLi8ELi2EEEES1S_NSS_IJLi8ELi1ELi1ELi2EEEENSS_IJLi2ELi1ELi128ELi1EEEENSS_IJLi1ELi2ELi0ELi3EEEES1V_NSS_IJLi4ELi1ELi1ELi2EEEES1V_NSS_IJLi1ELi1ELi1ELi2EEEES1T_S1U_S1V_S1V_S1W_S1V_S1X_NSS_IJLi0ELi1ELi2ELi3ELi4ELi5EEEELi5ELi4EEEDF16_NS5_IJPKDF16_EEEDF16_S8_S8_S9_NSB_INS5_IJSE_SG_SI_SG_SG_SK_SG_SM_SM_SO_SO_SQ_SG_SG_NSP_INS5_IJiNS_17integral_constantIiLi128EEEEEELb0EEENSF_INS23_IiLi2EEEEEEEENS5_IJST_SU_SV_SW_SX_SY_SZ_S10_S11_S12_S13_S14_S15_NSS_IJLi15EEEES1C_NSS_IJLi16EEEEEEENS5_IJS17_SX_SY_SZ_S18_S19_S1A_S12_S13_S15_S14_S1B_S1C_NSS_IJLi18EEEENSS_IJLi19ELi20EEEENSS_IJLi21EEEEEEENSS_IJLi18ELi19ELi20ELi21EEEElEENSB_INS5_IJSQ_SO_SO_SQ_SG_SG_S26_S28_EEENS5_IJST_SU_SV_SX_SW_SY_S18_SZ_EEENS5_IJS1I_SW_SX_S1J_S18_NSS_IJLi8EEEENSS_IJLi9ELi10EEEES12_EEENSS_IJLi8ELi9ELi10ELi11EEEElEENS5_IJNSB_INS5_IJSK_SO_SO_NSP_INS5_IJiS27_NS23_IiLi64EEEEEELb0EEES2S_EEENS5_IJST_SU_SV_SW_SX_EEENS5_IJS1I_SW_SX_NSS_IJLi5ELi6ELi7EEEENSS_IJLi8ELi9ELi10EEEEEEENSS_IJLi5ELi6ELi7ELi8ELi9ELi10EEEElEEEEES2Z_NS_31BlockToCTileMap_M00_N00_M01_N01ILi128ELi128ES1R_Lb0EEENS1_30ComputePtrOffsetOfStridedBatchILi1ELi1ELi1EvEELb1ELb0EEEvPKT0_S37_T1_PT2_T3_T4_T5_iT6_T7_T8_T9_T10_T11_
    .private_segment_fixed_size: 0
    .sgpr_count:     62
    .sgpr_spill_count: 0
    .symbol:         _ZN2ck16tensor_operation6device12_GLOBAL__N_137kernel_grouped_conv_fwd_dl_multiple_dINS_32GridwiseGemmDlMultipleD_km_kn_mnILi256EDF16_fNS_5TupleIJDF16_EEEDF16_NS0_12element_wise11PassThroughES8_NS7_7AddReluELNS_25InMemoryDataOperationEnumE0ENS_16TensorDescriptorINS5_IJNS_5EmbedINS5_IJiiiEEESD_Lb0EEENS_11PassThroughIiEENS_3PadIiiiLb0EEESG_SG_NSC_INS5_IJiiEEESJ_Lb0EEESG_NS_23Merge_v2_magic_divisionISJ_EESM_NS_8RightPadIiiLb0EEESO_NS_7UnMergeISJ_Lb0EEESG_EEENS5_IJNS_8SequenceIJLi0EEEENSS_IJLi1EEEENSS_IJLi2EEEENSS_IJLi3EEEENSS_IJLi4EEEENSS_IJLi5EEEENSS_IJLi6EEEENSS_IJLi7ELi9EEEENSS_IJLi8ELi10EEEENSS_IJLi11EEEENSS_IJLi12EEEENSS_IJLi14EEEENSS_IJLi13EEEEEEENS5_IJNSS_IJLi1ELi2ELi3EEEESX_SY_SZ_NSS_IJLi7EEEENSS_IJLi8ELi9EEEENSS_IJLi10EEEES12_S13_S15_S14_NSS_IJLi15ELi16EEEENSS_IJLi17EEEEEEENSS_IJLi15ELi17ELi16EEEElEENSB_INS5_IJSQ_SO_SO_SQ_SG_EEENS5_IJST_SU_SV_SX_SW_EEENS5_IJNSS_IJLi1ELi2EEEESW_SX_NSS_IJLi5ELi6EEEES18_EEENSS_IJLi5ELi7ELi6EEEElEENSB_INS5_IJSK_SO_SO_EEENS5_IJST_SU_SV_EEENS5_IJS1I_SW_SX_EEENSS_IJLi3ELi4EEEElEELi128ELi128ELi16ELi2ELi4ELi4ELi1ENSS_IJLi8ELi2EEEES1S_NSS_IJLi8ELi1ELi1ELi2EEEENSS_IJLi2ELi1ELi128ELi1EEEENSS_IJLi1ELi2ELi0ELi3EEEES1V_NSS_IJLi4ELi1ELi1ELi2EEEES1V_NSS_IJLi1ELi1ELi1ELi2EEEES1T_S1U_S1V_S1V_S1W_S1V_S1X_NSS_IJLi0ELi1ELi2ELi3ELi4ELi5EEEELi5ELi4EEEDF16_NS5_IJPKDF16_EEEDF16_S8_S8_S9_NSB_INS5_IJSE_SG_SI_SG_SG_SK_SG_SM_SM_SO_SO_SQ_SG_SG_NSP_INS5_IJiNS_17integral_constantIiLi128EEEEEELb0EEENSF_INS23_IiLi2EEEEEEEENS5_IJST_SU_SV_SW_SX_SY_SZ_S10_S11_S12_S13_S14_S15_NSS_IJLi15EEEES1C_NSS_IJLi16EEEEEEENS5_IJS17_SX_SY_SZ_S18_S19_S1A_S12_S13_S15_S14_S1B_S1C_NSS_IJLi18EEEENSS_IJLi19ELi20EEEENSS_IJLi21EEEEEEENSS_IJLi18ELi19ELi20ELi21EEEElEENSB_INS5_IJSQ_SO_SO_SQ_SG_SG_S26_S28_EEENS5_IJST_SU_SV_SX_SW_SY_S18_SZ_EEENS5_IJS1I_SW_SX_S1J_S18_NSS_IJLi8EEEENSS_IJLi9ELi10EEEES12_EEENSS_IJLi8ELi9ELi10ELi11EEEElEENS5_IJNSB_INS5_IJSK_SO_SO_NSP_INS5_IJiS27_NS23_IiLi64EEEEEELb0EEES2S_EEENS5_IJST_SU_SV_SW_SX_EEENS5_IJS1I_SW_SX_NSS_IJLi5ELi6ELi7EEEENSS_IJLi8ELi9ELi10EEEEEEENSS_IJLi5ELi6ELi7ELi8ELi9ELi10EEEElEEEEES2Z_NS_31BlockToCTileMap_M00_N00_M01_N01ILi128ELi128ES1R_Lb0EEENS1_30ComputePtrOffsetOfStridedBatchILi1ELi1ELi1EvEELb1ELb0EEEvPKT0_S37_T1_PT2_T3_T4_T5_iT6_T7_T8_T9_T10_T11_.kd
    .uniform_work_group_size: 1
    .uses_dynamic_stack: false
    .vgpr_count:     125
    .vgpr_spill_count: 0
    .wavefront_size: 32
    .workgroup_processor_mode: 1
  - .args:
      - .actual_access:  read_only
        .address_space:  global
        .offset:         0
        .size:           8
        .value_kind:     global_buffer
      - .actual_access:  read_only
        .address_space:  global
        .offset:         8
        .size:           8
        .value_kind:     global_buffer
      - .address_space:  global
        .offset:         16
        .size:           8
        .value_kind:     global_buffer
      - .actual_access:  write_only
        .address_space:  global
        .offset:         24
        .size:           8
        .value_kind:     global_buffer
      - .offset:         32
        .size:           1
        .value_kind:     by_value
      - .offset:         33
        .size:           1
        .value_kind:     by_value
      - .offset:         34
        .size:           1
        .value_kind:     by_value
      - .offset:         36
        .size:           4
        .value_kind:     by_value
      - .offset:         40
        .size:           200
        .value_kind:     by_value
      - .offset:         240
        .size:           96
        .value_kind:     by_value
      - .offset:         336
        .size:           80
        .value_kind:     by_value
      - .offset:         416
        .size:           80
        .value_kind:     by_value
      - .offset:         496
        .size:           112
        .value_kind:     by_value
      - .offset:         608
        .size:           40
        .value_kind:     by_value
      - .offset:         648
        .size:           4
        .value_kind:     hidden_block_count_x
      - .offset:         652
        .size:           4
        .value_kind:     hidden_block_count_y
      - .offset:         656
        .size:           4
        .value_kind:     hidden_block_count_z
      - .offset:         660
        .size:           2
        .value_kind:     hidden_group_size_x
      - .offset:         662
        .size:           2
        .value_kind:     hidden_group_size_y
      - .offset:         664
        .size:           2
        .value_kind:     hidden_group_size_z
      - .offset:         666
        .size:           2
        .value_kind:     hidden_remainder_x
      - .offset:         668
        .size:           2
        .value_kind:     hidden_remainder_y
      - .offset:         670
        .size:           2
        .value_kind:     hidden_remainder_z
      - .offset:         688
        .size:           8
        .value_kind:     hidden_global_offset_x
      - .offset:         696
        .size:           8
        .value_kind:     hidden_global_offset_y
      - .offset:         704
        .size:           8
        .value_kind:     hidden_global_offset_z
      - .offset:         712
        .size:           2
        .value_kind:     hidden_grid_dims
    .group_segment_fixed_size: 32768
    .kernarg_segment_align: 8
    .kernarg_segment_size: 904
    .language:       OpenCL C
    .language_version:
      - 2
      - 0
    .max_flat_workgroup_size: 256
    .name:           _ZN2ck16tensor_operation6device12_GLOBAL__N_137kernel_grouped_conv_fwd_dl_multiple_dINS_32GridwiseGemmDlMultipleD_km_kn_mnILi256EDF16_fNS_5TupleIJDF16_EEEDF16_NS0_12element_wise11PassThroughES8_NS7_7AddReluELNS_25InMemoryDataOperationEnumE0ENS_16TensorDescriptorINS5_IJNS_5EmbedINS5_IJiiiEEESD_Lb0EEENS_11PassThroughIiEENS_3PadIiiiLb0EEESG_SG_NSC_INS5_IJiiEEESJ_Lb0EEESG_NS_23Merge_v2_magic_divisionISJ_EESM_NS_8RightPadIiiLb0EEESO_NS_7UnMergeISJ_Lb0EEESG_EEENS5_IJNS_8SequenceIJLi0EEEENSS_IJLi1EEEENSS_IJLi2EEEENSS_IJLi3EEEENSS_IJLi4EEEENSS_IJLi5EEEENSS_IJLi6EEEENSS_IJLi7ELi9EEEENSS_IJLi8ELi10EEEENSS_IJLi11EEEENSS_IJLi12EEEENSS_IJLi14EEEENSS_IJLi13EEEEEEENS5_IJNSS_IJLi1ELi2ELi3EEEESX_SY_SZ_NSS_IJLi7EEEENSS_IJLi8ELi9EEEENSS_IJLi10EEEES12_S13_S15_S14_NSS_IJLi15ELi16EEEENSS_IJLi17EEEEEEENSS_IJLi15ELi17ELi16EEEElEENSB_INS5_IJSQ_SO_SO_SQ_SG_EEENS5_IJST_SU_SV_SX_SW_EEENS5_IJNSS_IJLi1ELi2EEEESW_SX_NSS_IJLi5ELi6EEEES18_EEENSS_IJLi5ELi7ELi6EEEElEENSB_INS5_IJSK_SO_SO_EEENS5_IJST_SU_SV_EEENS5_IJS1I_SW_SX_EEENSS_IJLi3ELi4EEEElEELi128ELi128ELi16ELi2ELi4ELi4ELi1ENSS_IJLi8ELi2EEEES1S_NSS_IJLi8ELi1ELi1ELi2EEEENSS_IJLi2ELi1ELi128ELi1EEEENSS_IJLi1ELi2ELi0ELi3EEEES1V_NSS_IJLi4ELi1ELi1ELi2EEEES1V_NSS_IJLi1ELi1ELi1ELi2EEEES1T_S1U_S1V_S1V_S1W_S1V_S1X_NSS_IJLi0ELi1ELi2ELi3ELi4ELi5EEEELi5ELi4EEEDF16_NS5_IJPKDF16_EEEDF16_S8_S8_S9_NSB_INS5_IJSE_SG_SI_SG_SG_SK_SG_SM_SM_SO_SO_SQ_SG_SG_NSP_INS5_IJiNS_17integral_constantIiLi128EEEEEELb0EEENSF_INS23_IiLi2EEEEEEEENS5_IJST_SU_SV_SW_SX_SY_SZ_S10_S11_S12_S13_S14_S15_NSS_IJLi15EEEES1C_NSS_IJLi16EEEEEEENS5_IJS17_SX_SY_SZ_S18_S19_S1A_S12_S13_S15_S14_S1B_S1C_NSS_IJLi18EEEENSS_IJLi19ELi20EEEENSS_IJLi21EEEEEEENSS_IJLi18ELi19ELi20ELi21EEEElEENSB_INS5_IJSQ_SO_SO_SQ_SG_SG_S26_S28_EEENS5_IJST_SU_SV_SX_SW_SY_S18_SZ_EEENS5_IJS1I_SW_SX_S1J_S18_NSS_IJLi8EEEENSS_IJLi9ELi10EEEES12_EEENSS_IJLi8ELi9ELi10ELi11EEEElEENS5_IJNSB_INS5_IJSK_SO_SO_NSP_INS5_IJiS27_NS23_IiLi64EEEEEELb0EEES2S_EEENS5_IJST_SU_SV_SW_SX_EEENS5_IJS1I_SW_SX_NSS_IJLi5ELi6ELi7EEEENSS_IJLi8ELi9ELi10EEEEEEENSS_IJLi5ELi6ELi7ELi8ELi9ELi10EEEElEEEEES2Z_NS_31BlockToCTileMap_M00_N00_M01_N01ILi128ELi128ES1R_Lb0EEENS1_30ComputePtrOffsetOfStridedBatchILi1ELi1ELi1EvEELb0ELb1EEEvPKT0_S37_T1_PT2_T3_T4_T5_iT6_T7_T8_T9_T10_T11_
    .private_segment_fixed_size: 0
    .sgpr_count:     50
    .sgpr_spill_count: 0
    .symbol:         _ZN2ck16tensor_operation6device12_GLOBAL__N_137kernel_grouped_conv_fwd_dl_multiple_dINS_32GridwiseGemmDlMultipleD_km_kn_mnILi256EDF16_fNS_5TupleIJDF16_EEEDF16_NS0_12element_wise11PassThroughES8_NS7_7AddReluELNS_25InMemoryDataOperationEnumE0ENS_16TensorDescriptorINS5_IJNS_5EmbedINS5_IJiiiEEESD_Lb0EEENS_11PassThroughIiEENS_3PadIiiiLb0EEESG_SG_NSC_INS5_IJiiEEESJ_Lb0EEESG_NS_23Merge_v2_magic_divisionISJ_EESM_NS_8RightPadIiiLb0EEESO_NS_7UnMergeISJ_Lb0EEESG_EEENS5_IJNS_8SequenceIJLi0EEEENSS_IJLi1EEEENSS_IJLi2EEEENSS_IJLi3EEEENSS_IJLi4EEEENSS_IJLi5EEEENSS_IJLi6EEEENSS_IJLi7ELi9EEEENSS_IJLi8ELi10EEEENSS_IJLi11EEEENSS_IJLi12EEEENSS_IJLi14EEEENSS_IJLi13EEEEEEENS5_IJNSS_IJLi1ELi2ELi3EEEESX_SY_SZ_NSS_IJLi7EEEENSS_IJLi8ELi9EEEENSS_IJLi10EEEES12_S13_S15_S14_NSS_IJLi15ELi16EEEENSS_IJLi17EEEEEEENSS_IJLi15ELi17ELi16EEEElEENSB_INS5_IJSQ_SO_SO_SQ_SG_EEENS5_IJST_SU_SV_SX_SW_EEENS5_IJNSS_IJLi1ELi2EEEESW_SX_NSS_IJLi5ELi6EEEES18_EEENSS_IJLi5ELi7ELi6EEEElEENSB_INS5_IJSK_SO_SO_EEENS5_IJST_SU_SV_EEENS5_IJS1I_SW_SX_EEENSS_IJLi3ELi4EEEElEELi128ELi128ELi16ELi2ELi4ELi4ELi1ENSS_IJLi8ELi2EEEES1S_NSS_IJLi8ELi1ELi1ELi2EEEENSS_IJLi2ELi1ELi128ELi1EEEENSS_IJLi1ELi2ELi0ELi3EEEES1V_NSS_IJLi4ELi1ELi1ELi2EEEES1V_NSS_IJLi1ELi1ELi1ELi2EEEES1T_S1U_S1V_S1V_S1W_S1V_S1X_NSS_IJLi0ELi1ELi2ELi3ELi4ELi5EEEELi5ELi4EEEDF16_NS5_IJPKDF16_EEEDF16_S8_S8_S9_NSB_INS5_IJSE_SG_SI_SG_SG_SK_SG_SM_SM_SO_SO_SQ_SG_SG_NSP_INS5_IJiNS_17integral_constantIiLi128EEEEEELb0EEENSF_INS23_IiLi2EEEEEEEENS5_IJST_SU_SV_SW_SX_SY_SZ_S10_S11_S12_S13_S14_S15_NSS_IJLi15EEEES1C_NSS_IJLi16EEEEEEENS5_IJS17_SX_SY_SZ_S18_S19_S1A_S12_S13_S15_S14_S1B_S1C_NSS_IJLi18EEEENSS_IJLi19ELi20EEEENSS_IJLi21EEEEEEENSS_IJLi18ELi19ELi20ELi21EEEElEENSB_INS5_IJSQ_SO_SO_SQ_SG_SG_S26_S28_EEENS5_IJST_SU_SV_SX_SW_SY_S18_SZ_EEENS5_IJS1I_SW_SX_S1J_S18_NSS_IJLi8EEEENSS_IJLi9ELi10EEEES12_EEENSS_IJLi8ELi9ELi10ELi11EEEElEENS5_IJNSB_INS5_IJSK_SO_SO_NSP_INS5_IJiS27_NS23_IiLi64EEEEEELb0EEES2S_EEENS5_IJST_SU_SV_SW_SX_EEENS5_IJS1I_SW_SX_NSS_IJLi5ELi6ELi7EEEENSS_IJLi8ELi9ELi10EEEEEEENSS_IJLi5ELi6ELi7ELi8ELi9ELi10EEEElEEEEES2Z_NS_31BlockToCTileMap_M00_N00_M01_N01ILi128ELi128ES1R_Lb0EEENS1_30ComputePtrOffsetOfStridedBatchILi1ELi1ELi1EvEELb0ELb1EEEvPKT0_S37_T1_PT2_T3_T4_T5_iT6_T7_T8_T9_T10_T11_.kd
    .uniform_work_group_size: 1
    .uses_dynamic_stack: false
    .vgpr_count:     121
    .vgpr_spill_count: 0
    .wavefront_size: 32
    .workgroup_processor_mode: 1
  - .args:
      - .actual_access:  read_only
        .address_space:  global
        .offset:         0
        .size:           8
        .value_kind:     global_buffer
      - .actual_access:  read_only
        .address_space:  global
        .offset:         8
        .size:           8
        .value_kind:     global_buffer
      - .address_space:  global
        .offset:         16
        .size:           8
        .value_kind:     global_buffer
      - .actual_access:  write_only
        .address_space:  global
        .offset:         24
        .size:           8
        .value_kind:     global_buffer
      - .offset:         32
        .size:           1
        .value_kind:     by_value
      - .offset:         33
        .size:           1
        .value_kind:     by_value
      - .offset:         34
        .size:           1
        .value_kind:     by_value
      - .offset:         36
        .size:           4
        .value_kind:     by_value
      - .offset:         40
        .size:           200
        .value_kind:     by_value
      - .offset:         240
        .size:           96
        .value_kind:     by_value
      - .offset:         336
        .size:           80
        .value_kind:     by_value
      - .offset:         416
        .size:           80
        .value_kind:     by_value
      - .offset:         496
        .size:           112
        .value_kind:     by_value
      - .offset:         608
        .size:           40
        .value_kind:     by_value
      - .offset:         648
        .size:           4
        .value_kind:     hidden_block_count_x
      - .offset:         652
        .size:           4
        .value_kind:     hidden_block_count_y
      - .offset:         656
        .size:           4
        .value_kind:     hidden_block_count_z
      - .offset:         660
        .size:           2
        .value_kind:     hidden_group_size_x
      - .offset:         662
        .size:           2
        .value_kind:     hidden_group_size_y
      - .offset:         664
        .size:           2
        .value_kind:     hidden_group_size_z
      - .offset:         666
        .size:           2
        .value_kind:     hidden_remainder_x
      - .offset:         668
        .size:           2
        .value_kind:     hidden_remainder_y
      - .offset:         670
        .size:           2
        .value_kind:     hidden_remainder_z
      - .offset:         688
        .size:           8
        .value_kind:     hidden_global_offset_x
      - .offset:         696
        .size:           8
        .value_kind:     hidden_global_offset_y
      - .offset:         704
        .size:           8
        .value_kind:     hidden_global_offset_z
      - .offset:         712
        .size:           2
        .value_kind:     hidden_grid_dims
    .group_segment_fixed_size: 32768
    .kernarg_segment_align: 8
    .kernarg_segment_size: 904
    .language:       OpenCL C
    .language_version:
      - 2
      - 0
    .max_flat_workgroup_size: 256
    .name:           _ZN2ck16tensor_operation6device12_GLOBAL__N_137kernel_grouped_conv_fwd_dl_multiple_dINS_32GridwiseGemmDlMultipleD_km_kn_mnILi256EDF16_fNS_5TupleIJDF16_EEEDF16_NS0_12element_wise11PassThroughES8_NS7_7AddReluELNS_25InMemoryDataOperationEnumE0ENS_16TensorDescriptorINS5_IJNS_5EmbedINS5_IJiiiEEESD_Lb0EEENS_11PassThroughIiEENS_3PadIiiiLb0EEESG_SG_NSC_INS5_IJiiEEESJ_Lb0EEESG_NS_23Merge_v2_magic_divisionISJ_EESM_NS_8RightPadIiiLb0EEESO_NS_7UnMergeISJ_Lb0EEESG_EEENS5_IJNS_8SequenceIJLi0EEEENSS_IJLi1EEEENSS_IJLi2EEEENSS_IJLi3EEEENSS_IJLi4EEEENSS_IJLi5EEEENSS_IJLi6EEEENSS_IJLi7ELi9EEEENSS_IJLi8ELi10EEEENSS_IJLi11EEEENSS_IJLi12EEEENSS_IJLi14EEEENSS_IJLi13EEEEEEENS5_IJNSS_IJLi1ELi2ELi3EEEESX_SY_SZ_NSS_IJLi7EEEENSS_IJLi8ELi9EEEENSS_IJLi10EEEES12_S13_S15_S14_NSS_IJLi15ELi16EEEENSS_IJLi17EEEEEEENSS_IJLi15ELi17ELi16EEEElEENSB_INS5_IJSQ_SO_SO_SQ_SG_EEENS5_IJST_SU_SV_SX_SW_EEENS5_IJNSS_IJLi1ELi2EEEESW_SX_NSS_IJLi5ELi6EEEES18_EEENSS_IJLi5ELi7ELi6EEEElEENSB_INS5_IJSK_SO_SO_EEENS5_IJST_SU_SV_EEENS5_IJS1I_SW_SX_EEENSS_IJLi3ELi4EEEElEELi128ELi128ELi16ELi2ELi4ELi4ELi1ENSS_IJLi8ELi2EEEES1S_NSS_IJLi8ELi1ELi1ELi2EEEENSS_IJLi2ELi1ELi128ELi1EEEENSS_IJLi1ELi2ELi0ELi3EEEES1V_NSS_IJLi4ELi1ELi1ELi2EEEES1V_NSS_IJLi1ELi1ELi1ELi2EEEES1T_S1U_S1V_S1V_S1W_S1V_S1X_NSS_IJLi0ELi1ELi2ELi3ELi4ELi5EEEELi5ELi4EEEDF16_NS5_IJPKDF16_EEEDF16_S8_S8_S9_NSB_INS5_IJSE_SG_SI_SG_SG_SK_SG_SM_SM_SO_SO_SQ_SG_SG_NSP_INS5_IJiNS_17integral_constantIiLi128EEEEEELb0EEENSF_INS23_IiLi2EEEEEEEENS5_IJST_SU_SV_SW_SX_SY_SZ_S10_S11_S12_S13_S14_S15_NSS_IJLi15EEEES1C_NSS_IJLi16EEEEEEENS5_IJS17_SX_SY_SZ_S18_S19_S1A_S12_S13_S15_S14_S1B_S1C_NSS_IJLi18EEEENSS_IJLi19ELi20EEEENSS_IJLi21EEEEEEENSS_IJLi18ELi19ELi20ELi21EEEElEENSB_INS5_IJSQ_SO_SO_SQ_SG_SG_S26_S28_EEENS5_IJST_SU_SV_SX_SW_SY_S18_SZ_EEENS5_IJS1I_SW_SX_S1J_S18_NSS_IJLi8EEEENSS_IJLi9ELi10EEEES12_EEENSS_IJLi8ELi9ELi10ELi11EEEElEENS5_IJNSB_INS5_IJSK_SO_SO_NSP_INS5_IJiS27_NS23_IiLi64EEEEEELb0EEES2S_EEENS5_IJST_SU_SV_SW_SX_EEENS5_IJS1I_SW_SX_NSS_IJLi5ELi6ELi7EEEENSS_IJLi8ELi9ELi10EEEEEEENSS_IJLi5ELi6ELi7ELi8ELi9ELi10EEEElEEEEES2Z_NS_31BlockToCTileMap_M00_N00_M01_N01ILi128ELi128ES1R_Lb0EEENS1_30ComputePtrOffsetOfStridedBatchILi1ELi1ELi1EvEELb0ELb0EEEvPKT0_S37_T1_PT2_T3_T4_T5_iT6_T7_T8_T9_T10_T11_
    .private_segment_fixed_size: 0
    .sgpr_count:     46
    .sgpr_spill_count: 0
    .symbol:         _ZN2ck16tensor_operation6device12_GLOBAL__N_137kernel_grouped_conv_fwd_dl_multiple_dINS_32GridwiseGemmDlMultipleD_km_kn_mnILi256EDF16_fNS_5TupleIJDF16_EEEDF16_NS0_12element_wise11PassThroughES8_NS7_7AddReluELNS_25InMemoryDataOperationEnumE0ENS_16TensorDescriptorINS5_IJNS_5EmbedINS5_IJiiiEEESD_Lb0EEENS_11PassThroughIiEENS_3PadIiiiLb0EEESG_SG_NSC_INS5_IJiiEEESJ_Lb0EEESG_NS_23Merge_v2_magic_divisionISJ_EESM_NS_8RightPadIiiLb0EEESO_NS_7UnMergeISJ_Lb0EEESG_EEENS5_IJNS_8SequenceIJLi0EEEENSS_IJLi1EEEENSS_IJLi2EEEENSS_IJLi3EEEENSS_IJLi4EEEENSS_IJLi5EEEENSS_IJLi6EEEENSS_IJLi7ELi9EEEENSS_IJLi8ELi10EEEENSS_IJLi11EEEENSS_IJLi12EEEENSS_IJLi14EEEENSS_IJLi13EEEEEEENS5_IJNSS_IJLi1ELi2ELi3EEEESX_SY_SZ_NSS_IJLi7EEEENSS_IJLi8ELi9EEEENSS_IJLi10EEEES12_S13_S15_S14_NSS_IJLi15ELi16EEEENSS_IJLi17EEEEEEENSS_IJLi15ELi17ELi16EEEElEENSB_INS5_IJSQ_SO_SO_SQ_SG_EEENS5_IJST_SU_SV_SX_SW_EEENS5_IJNSS_IJLi1ELi2EEEESW_SX_NSS_IJLi5ELi6EEEES18_EEENSS_IJLi5ELi7ELi6EEEElEENSB_INS5_IJSK_SO_SO_EEENS5_IJST_SU_SV_EEENS5_IJS1I_SW_SX_EEENSS_IJLi3ELi4EEEElEELi128ELi128ELi16ELi2ELi4ELi4ELi1ENSS_IJLi8ELi2EEEES1S_NSS_IJLi8ELi1ELi1ELi2EEEENSS_IJLi2ELi1ELi128ELi1EEEENSS_IJLi1ELi2ELi0ELi3EEEES1V_NSS_IJLi4ELi1ELi1ELi2EEEES1V_NSS_IJLi1ELi1ELi1ELi2EEEES1T_S1U_S1V_S1V_S1W_S1V_S1X_NSS_IJLi0ELi1ELi2ELi3ELi4ELi5EEEELi5ELi4EEEDF16_NS5_IJPKDF16_EEEDF16_S8_S8_S9_NSB_INS5_IJSE_SG_SI_SG_SG_SK_SG_SM_SM_SO_SO_SQ_SG_SG_NSP_INS5_IJiNS_17integral_constantIiLi128EEEEEELb0EEENSF_INS23_IiLi2EEEEEEEENS5_IJST_SU_SV_SW_SX_SY_SZ_S10_S11_S12_S13_S14_S15_NSS_IJLi15EEEES1C_NSS_IJLi16EEEEEEENS5_IJS17_SX_SY_SZ_S18_S19_S1A_S12_S13_S15_S14_S1B_S1C_NSS_IJLi18EEEENSS_IJLi19ELi20EEEENSS_IJLi21EEEEEEENSS_IJLi18ELi19ELi20ELi21EEEElEENSB_INS5_IJSQ_SO_SO_SQ_SG_SG_S26_S28_EEENS5_IJST_SU_SV_SX_SW_SY_S18_SZ_EEENS5_IJS1I_SW_SX_S1J_S18_NSS_IJLi8EEEENSS_IJLi9ELi10EEEES12_EEENSS_IJLi8ELi9ELi10ELi11EEEElEENS5_IJNSB_INS5_IJSK_SO_SO_NSP_INS5_IJiS27_NS23_IiLi64EEEEEELb0EEES2S_EEENS5_IJST_SU_SV_SW_SX_EEENS5_IJS1I_SW_SX_NSS_IJLi5ELi6ELi7EEEENSS_IJLi8ELi9ELi10EEEEEEENSS_IJLi5ELi6ELi7ELi8ELi9ELi10EEEElEEEEES2Z_NS_31BlockToCTileMap_M00_N00_M01_N01ILi128ELi128ES1R_Lb0EEENS1_30ComputePtrOffsetOfStridedBatchILi1ELi1ELi1EvEELb0ELb0EEEvPKT0_S37_T1_PT2_T3_T4_T5_iT6_T7_T8_T9_T10_T11_.kd
    .uniform_work_group_size: 1
    .uses_dynamic_stack: false
    .vgpr_count:     124
    .vgpr_spill_count: 0
    .wavefront_size: 32
    .workgroup_processor_mode: 1
  - .args:
      - .actual_access:  read_only
        .address_space:  global
        .offset:         0
        .size:           8
        .value_kind:     global_buffer
      - .actual_access:  read_only
        .address_space:  global
        .offset:         8
        .size:           8
        .value_kind:     global_buffer
      - .address_space:  global
        .offset:         16
        .size:           8
        .value_kind:     global_buffer
      - .actual_access:  write_only
        .address_space:  global
        .offset:         24
        .size:           8
        .value_kind:     global_buffer
      - .offset:         32
        .size:           1
        .value_kind:     by_value
      - .offset:         33
        .size:           1
        .value_kind:     by_value
      - .offset:         34
        .size:           1
        .value_kind:     by_value
      - .offset:         36
        .size:           4
        .value_kind:     by_value
      - .offset:         40
        .size:           264
        .value_kind:     by_value
      - .offset:         304
        .size:           96
        .value_kind:     by_value
      - .offset:         400
        .size:           80
        .value_kind:     by_value
      - .offset:         480
        .size:           80
        .value_kind:     by_value
      - .offset:         560
        .size:           112
        .value_kind:     by_value
      - .offset:         672
        .size:           40
        .value_kind:     by_value
      - .offset:         712
        .size:           4
        .value_kind:     hidden_block_count_x
      - .offset:         716
        .size:           4
        .value_kind:     hidden_block_count_y
      - .offset:         720
        .size:           4
        .value_kind:     hidden_block_count_z
      - .offset:         724
        .size:           2
        .value_kind:     hidden_group_size_x
      - .offset:         726
        .size:           2
        .value_kind:     hidden_group_size_y
      - .offset:         728
        .size:           2
        .value_kind:     hidden_group_size_z
      - .offset:         730
        .size:           2
        .value_kind:     hidden_remainder_x
      - .offset:         732
        .size:           2
        .value_kind:     hidden_remainder_y
      - .offset:         734
        .size:           2
        .value_kind:     hidden_remainder_z
      - .offset:         752
        .size:           8
        .value_kind:     hidden_global_offset_x
      - .offset:         760
        .size:           8
        .value_kind:     hidden_global_offset_y
      - .offset:         768
        .size:           8
        .value_kind:     hidden_global_offset_z
      - .offset:         776
        .size:           2
        .value_kind:     hidden_grid_dims
    .group_segment_fixed_size: 32768
    .kernarg_segment_align: 8
    .kernarg_segment_size: 968
    .language:       OpenCL C
    .language_version:
      - 2
      - 0
    .max_flat_workgroup_size: 256
    .name:           _ZN2ck16tensor_operation6device12_GLOBAL__N_137kernel_grouped_conv_fwd_dl_multiple_dINS_32GridwiseGemmDlMultipleD_km_kn_mnILi256EDF16_fNS_5TupleIJDF16_EEEDF16_NS0_12element_wise11PassThroughES8_NS7_7AddReluELNS_25InMemoryDataOperationEnumE0ENS_16TensorDescriptorINS5_IJNS_5EmbedINS5_IJiiiiEEESD_Lb0EEENS_11PassThroughIiEENS_3PadIiiiLb0EEESI_SG_SG_NSC_INS5_IJiiEEESJ_Lb0EEESK_SG_NS_23Merge_v2_magic_divisionINS5_IJiiiEEEEESN_NS_8RightPadIiiLb0EEESP_NS_7UnMergeISJ_Lb0EEESG_EEENS5_IJNS_8SequenceIJLi0EEEENST_IJLi1EEEENST_IJLi2EEEENST_IJLi3EEEENST_IJLi4EEEENST_IJLi5EEEENST_IJLi6EEEENST_IJLi7EEEENST_IJLi8EEEENST_IJLi9ELi11ELi13EEEENST_IJLi10ELi12ELi14EEEENST_IJLi15EEEENST_IJLi16EEEENST_IJLi18EEEENST_IJLi17EEEEEEENS5_IJNST_IJLi1ELi2ELi3ELi4EEEESZ_S10_S11_S12_NST_IJLi9EEEENST_IJLi10ELi11EEEENST_IJLi12ELi13EEEENST_IJLi14EEEES15_S16_S18_S17_NST_IJLi19ELi20EEEENST_IJLi21EEEEEEENST_IJLi19ELi21ELi20EEEElEENSB_INS5_IJSR_SP_SP_SR_SG_EEENS5_IJSU_SV_SW_SY_SX_EEENS5_IJNST_IJLi1ELi2EEEESX_SY_NST_IJLi5ELi6EEEES11_EEENST_IJLi5ELi7ELi6EEEElEENSB_INS5_IJSK_SP_SP_EEENS5_IJSU_SV_SW_EEENS5_IJS1M_SX_SY_EEENST_IJLi3ELi4EEEElEELi128ELi128ELi16ELi2ELi4ELi4ELi1ENST_IJLi8ELi2EEEES1W_NST_IJLi8ELi1ELi1ELi2EEEENST_IJLi2ELi1ELi128ELi1EEEENST_IJLi1ELi2ELi0ELi3EEEES1Z_NST_IJLi4ELi1ELi1ELi2EEEES1Z_NST_IJLi1ELi1ELi1ELi2EEEES1X_S1Y_S1Z_S1Z_S20_S1Z_S21_NST_IJLi0ELi1ELi2ELi3ELi4ELi5EEEELi5ELi4EEEDF16_NS5_IJPKDF16_EEEDF16_S8_S8_S9_NSB_INS5_IJSE_SG_SI_SI_SG_SG_SK_SK_SG_SN_SN_SP_SP_SR_SG_SG_NSQ_INS5_IJiNS_17integral_constantIiLi128EEEEEELb0EEENSF_INS27_IiLi2EEEEEEEENS5_IJSU_SV_SW_SX_SY_SZ_S10_S11_S12_S13_S14_S15_S16_S17_S18_NST_IJLi19EEEES1G_NST_IJLi20EEEEEEENS5_IJS1A_SZ_S10_S11_S12_S1B_S1C_S1D_S1E_S15_S16_S18_S17_S1F_S1G_NST_IJLi22EEEENST_IJLi23ELi24EEEENST_IJLi25EEEEEEENST_IJLi22ELi23ELi24ELi25EEEElEENSB_INS5_IJSR_SP_SP_SR_SG_SG_S2A_S2C_EEENS5_IJSU_SV_SW_SY_SX_SZ_S11_S10_EEENS5_IJS1M_SX_SY_S1N_S11_S12_NST_IJLi9ELi10EEEENST_IJLi11EEEEEEENST_IJLi8ELi9ELi10ELi11EEEElEENS5_IJNSB_INS5_IJSK_SP_SP_NSQ_INS5_IJiS2B_NS27_IiLi64EEEEEELb0EEES2W_EEENS5_IJSU_SV_SW_SX_SY_EEENS5_IJS1M_SX_SY_NST_IJLi5ELi6ELi7EEEENST_IJLi8ELi9ELi10EEEEEEENST_IJLi5ELi6ELi7ELi8ELi9ELi10EEEElEEEEES33_NS_31BlockToCTileMap_M00_N00_M01_N01ILi128ELi128ES1V_Lb0EEENS1_30ComputePtrOffsetOfStridedBatchILi1ELi1ELi1EvEELb1ELb1EEEvPKT0_S3B_T1_PT2_T3_T4_T5_iT6_T7_T8_T9_T10_T11_
    .private_segment_fixed_size: 0
    .sgpr_count:     79
    .sgpr_spill_count: 0
    .symbol:         _ZN2ck16tensor_operation6device12_GLOBAL__N_137kernel_grouped_conv_fwd_dl_multiple_dINS_32GridwiseGemmDlMultipleD_km_kn_mnILi256EDF16_fNS_5TupleIJDF16_EEEDF16_NS0_12element_wise11PassThroughES8_NS7_7AddReluELNS_25InMemoryDataOperationEnumE0ENS_16TensorDescriptorINS5_IJNS_5EmbedINS5_IJiiiiEEESD_Lb0EEENS_11PassThroughIiEENS_3PadIiiiLb0EEESI_SG_SG_NSC_INS5_IJiiEEESJ_Lb0EEESK_SG_NS_23Merge_v2_magic_divisionINS5_IJiiiEEEEESN_NS_8RightPadIiiLb0EEESP_NS_7UnMergeISJ_Lb0EEESG_EEENS5_IJNS_8SequenceIJLi0EEEENST_IJLi1EEEENST_IJLi2EEEENST_IJLi3EEEENST_IJLi4EEEENST_IJLi5EEEENST_IJLi6EEEENST_IJLi7EEEENST_IJLi8EEEENST_IJLi9ELi11ELi13EEEENST_IJLi10ELi12ELi14EEEENST_IJLi15EEEENST_IJLi16EEEENST_IJLi18EEEENST_IJLi17EEEEEEENS5_IJNST_IJLi1ELi2ELi3ELi4EEEESZ_S10_S11_S12_NST_IJLi9EEEENST_IJLi10ELi11EEEENST_IJLi12ELi13EEEENST_IJLi14EEEES15_S16_S18_S17_NST_IJLi19ELi20EEEENST_IJLi21EEEEEEENST_IJLi19ELi21ELi20EEEElEENSB_INS5_IJSR_SP_SP_SR_SG_EEENS5_IJSU_SV_SW_SY_SX_EEENS5_IJNST_IJLi1ELi2EEEESX_SY_NST_IJLi5ELi6EEEES11_EEENST_IJLi5ELi7ELi6EEEElEENSB_INS5_IJSK_SP_SP_EEENS5_IJSU_SV_SW_EEENS5_IJS1M_SX_SY_EEENST_IJLi3ELi4EEEElEELi128ELi128ELi16ELi2ELi4ELi4ELi1ENST_IJLi8ELi2EEEES1W_NST_IJLi8ELi1ELi1ELi2EEEENST_IJLi2ELi1ELi128ELi1EEEENST_IJLi1ELi2ELi0ELi3EEEES1Z_NST_IJLi4ELi1ELi1ELi2EEEES1Z_NST_IJLi1ELi1ELi1ELi2EEEES1X_S1Y_S1Z_S1Z_S20_S1Z_S21_NST_IJLi0ELi1ELi2ELi3ELi4ELi5EEEELi5ELi4EEEDF16_NS5_IJPKDF16_EEEDF16_S8_S8_S9_NSB_INS5_IJSE_SG_SI_SI_SG_SG_SK_SK_SG_SN_SN_SP_SP_SR_SG_SG_NSQ_INS5_IJiNS_17integral_constantIiLi128EEEEEELb0EEENSF_INS27_IiLi2EEEEEEEENS5_IJSU_SV_SW_SX_SY_SZ_S10_S11_S12_S13_S14_S15_S16_S17_S18_NST_IJLi19EEEES1G_NST_IJLi20EEEEEEENS5_IJS1A_SZ_S10_S11_S12_S1B_S1C_S1D_S1E_S15_S16_S18_S17_S1F_S1G_NST_IJLi22EEEENST_IJLi23ELi24EEEENST_IJLi25EEEEEEENST_IJLi22ELi23ELi24ELi25EEEElEENSB_INS5_IJSR_SP_SP_SR_SG_SG_S2A_S2C_EEENS5_IJSU_SV_SW_SY_SX_SZ_S11_S10_EEENS5_IJS1M_SX_SY_S1N_S11_S12_NST_IJLi9ELi10EEEENST_IJLi11EEEEEEENST_IJLi8ELi9ELi10ELi11EEEElEENS5_IJNSB_INS5_IJSK_SP_SP_NSQ_INS5_IJiS2B_NS27_IiLi64EEEEEELb0EEES2W_EEENS5_IJSU_SV_SW_SX_SY_EEENS5_IJS1M_SX_SY_NST_IJLi5ELi6ELi7EEEENST_IJLi8ELi9ELi10EEEEEEENST_IJLi5ELi6ELi7ELi8ELi9ELi10EEEElEEEEES33_NS_31BlockToCTileMap_M00_N00_M01_N01ILi128ELi128ES1V_Lb0EEENS1_30ComputePtrOffsetOfStridedBatchILi1ELi1ELi1EvEELb1ELb1EEEvPKT0_S3B_T1_PT2_T3_T4_T5_iT6_T7_T8_T9_T10_T11_.kd
    .uniform_work_group_size: 1
    .uses_dynamic_stack: false
    .vgpr_count:     149
    .vgpr_spill_count: 0
    .wavefront_size: 32
    .workgroup_processor_mode: 1
  - .args:
      - .actual_access:  read_only
        .address_space:  global
        .offset:         0
        .size:           8
        .value_kind:     global_buffer
      - .actual_access:  read_only
        .address_space:  global
        .offset:         8
        .size:           8
        .value_kind:     global_buffer
      - .address_space:  global
        .offset:         16
        .size:           8
        .value_kind:     global_buffer
      - .actual_access:  write_only
        .address_space:  global
        .offset:         24
        .size:           8
        .value_kind:     global_buffer
      - .offset:         32
        .size:           1
        .value_kind:     by_value
      - .offset:         33
        .size:           1
        .value_kind:     by_value
      - .offset:         34
        .size:           1
        .value_kind:     by_value
      - .offset:         36
        .size:           4
        .value_kind:     by_value
      - .offset:         40
        .size:           264
        .value_kind:     by_value
      - .offset:         304
        .size:           96
        .value_kind:     by_value
      - .offset:         400
        .size:           80
        .value_kind:     by_value
      - .offset:         480
        .size:           80
        .value_kind:     by_value
      - .offset:         560
        .size:           112
        .value_kind:     by_value
      - .offset:         672
        .size:           40
        .value_kind:     by_value
      - .offset:         712
        .size:           4
        .value_kind:     hidden_block_count_x
      - .offset:         716
        .size:           4
        .value_kind:     hidden_block_count_y
      - .offset:         720
        .size:           4
        .value_kind:     hidden_block_count_z
      - .offset:         724
        .size:           2
        .value_kind:     hidden_group_size_x
      - .offset:         726
        .size:           2
        .value_kind:     hidden_group_size_y
      - .offset:         728
        .size:           2
        .value_kind:     hidden_group_size_z
      - .offset:         730
        .size:           2
        .value_kind:     hidden_remainder_x
      - .offset:         732
        .size:           2
        .value_kind:     hidden_remainder_y
      - .offset:         734
        .size:           2
        .value_kind:     hidden_remainder_z
      - .offset:         752
        .size:           8
        .value_kind:     hidden_global_offset_x
      - .offset:         760
        .size:           8
        .value_kind:     hidden_global_offset_y
      - .offset:         768
        .size:           8
        .value_kind:     hidden_global_offset_z
      - .offset:         776
        .size:           2
        .value_kind:     hidden_grid_dims
    .group_segment_fixed_size: 32768
    .kernarg_segment_align: 8
    .kernarg_segment_size: 968
    .language:       OpenCL C
    .language_version:
      - 2
      - 0
    .max_flat_workgroup_size: 256
    .name:           _ZN2ck16tensor_operation6device12_GLOBAL__N_137kernel_grouped_conv_fwd_dl_multiple_dINS_32GridwiseGemmDlMultipleD_km_kn_mnILi256EDF16_fNS_5TupleIJDF16_EEEDF16_NS0_12element_wise11PassThroughES8_NS7_7AddReluELNS_25InMemoryDataOperationEnumE0ENS_16TensorDescriptorINS5_IJNS_5EmbedINS5_IJiiiiEEESD_Lb0EEENS_11PassThroughIiEENS_3PadIiiiLb0EEESI_SG_SG_NSC_INS5_IJiiEEESJ_Lb0EEESK_SG_NS_23Merge_v2_magic_divisionINS5_IJiiiEEEEESN_NS_8RightPadIiiLb0EEESP_NS_7UnMergeISJ_Lb0EEESG_EEENS5_IJNS_8SequenceIJLi0EEEENST_IJLi1EEEENST_IJLi2EEEENST_IJLi3EEEENST_IJLi4EEEENST_IJLi5EEEENST_IJLi6EEEENST_IJLi7EEEENST_IJLi8EEEENST_IJLi9ELi11ELi13EEEENST_IJLi10ELi12ELi14EEEENST_IJLi15EEEENST_IJLi16EEEENST_IJLi18EEEENST_IJLi17EEEEEEENS5_IJNST_IJLi1ELi2ELi3ELi4EEEESZ_S10_S11_S12_NST_IJLi9EEEENST_IJLi10ELi11EEEENST_IJLi12ELi13EEEENST_IJLi14EEEES15_S16_S18_S17_NST_IJLi19ELi20EEEENST_IJLi21EEEEEEENST_IJLi19ELi21ELi20EEEElEENSB_INS5_IJSR_SP_SP_SR_SG_EEENS5_IJSU_SV_SW_SY_SX_EEENS5_IJNST_IJLi1ELi2EEEESX_SY_NST_IJLi5ELi6EEEES11_EEENST_IJLi5ELi7ELi6EEEElEENSB_INS5_IJSK_SP_SP_EEENS5_IJSU_SV_SW_EEENS5_IJS1M_SX_SY_EEENST_IJLi3ELi4EEEElEELi128ELi128ELi16ELi2ELi4ELi4ELi1ENST_IJLi8ELi2EEEES1W_NST_IJLi8ELi1ELi1ELi2EEEENST_IJLi2ELi1ELi128ELi1EEEENST_IJLi1ELi2ELi0ELi3EEEES1Z_NST_IJLi4ELi1ELi1ELi2EEEES1Z_NST_IJLi1ELi1ELi1ELi2EEEES1X_S1Y_S1Z_S1Z_S20_S1Z_S21_NST_IJLi0ELi1ELi2ELi3ELi4ELi5EEEELi5ELi4EEEDF16_NS5_IJPKDF16_EEEDF16_S8_S8_S9_NSB_INS5_IJSE_SG_SI_SI_SG_SG_SK_SK_SG_SN_SN_SP_SP_SR_SG_SG_NSQ_INS5_IJiNS_17integral_constantIiLi128EEEEEELb0EEENSF_INS27_IiLi2EEEEEEEENS5_IJSU_SV_SW_SX_SY_SZ_S10_S11_S12_S13_S14_S15_S16_S17_S18_NST_IJLi19EEEES1G_NST_IJLi20EEEEEEENS5_IJS1A_SZ_S10_S11_S12_S1B_S1C_S1D_S1E_S15_S16_S18_S17_S1F_S1G_NST_IJLi22EEEENST_IJLi23ELi24EEEENST_IJLi25EEEEEEENST_IJLi22ELi23ELi24ELi25EEEElEENSB_INS5_IJSR_SP_SP_SR_SG_SG_S2A_S2C_EEENS5_IJSU_SV_SW_SY_SX_SZ_S11_S10_EEENS5_IJS1M_SX_SY_S1N_S11_S12_NST_IJLi9ELi10EEEENST_IJLi11EEEEEEENST_IJLi8ELi9ELi10ELi11EEEElEENS5_IJNSB_INS5_IJSK_SP_SP_NSQ_INS5_IJiS2B_NS27_IiLi64EEEEEELb0EEES2W_EEENS5_IJSU_SV_SW_SX_SY_EEENS5_IJS1M_SX_SY_NST_IJLi5ELi6ELi7EEEENST_IJLi8ELi9ELi10EEEEEEENST_IJLi5ELi6ELi7ELi8ELi9ELi10EEEElEEEEES33_NS_31BlockToCTileMap_M00_N00_M01_N01ILi128ELi128ES1V_Lb0EEENS1_30ComputePtrOffsetOfStridedBatchILi1ELi1ELi1EvEELb1ELb0EEEvPKT0_S3B_T1_PT2_T3_T4_T5_iT6_T7_T8_T9_T10_T11_
    .private_segment_fixed_size: 0
    .sgpr_count:     71
    .sgpr_spill_count: 0
    .symbol:         _ZN2ck16tensor_operation6device12_GLOBAL__N_137kernel_grouped_conv_fwd_dl_multiple_dINS_32GridwiseGemmDlMultipleD_km_kn_mnILi256EDF16_fNS_5TupleIJDF16_EEEDF16_NS0_12element_wise11PassThroughES8_NS7_7AddReluELNS_25InMemoryDataOperationEnumE0ENS_16TensorDescriptorINS5_IJNS_5EmbedINS5_IJiiiiEEESD_Lb0EEENS_11PassThroughIiEENS_3PadIiiiLb0EEESI_SG_SG_NSC_INS5_IJiiEEESJ_Lb0EEESK_SG_NS_23Merge_v2_magic_divisionINS5_IJiiiEEEEESN_NS_8RightPadIiiLb0EEESP_NS_7UnMergeISJ_Lb0EEESG_EEENS5_IJNS_8SequenceIJLi0EEEENST_IJLi1EEEENST_IJLi2EEEENST_IJLi3EEEENST_IJLi4EEEENST_IJLi5EEEENST_IJLi6EEEENST_IJLi7EEEENST_IJLi8EEEENST_IJLi9ELi11ELi13EEEENST_IJLi10ELi12ELi14EEEENST_IJLi15EEEENST_IJLi16EEEENST_IJLi18EEEENST_IJLi17EEEEEEENS5_IJNST_IJLi1ELi2ELi3ELi4EEEESZ_S10_S11_S12_NST_IJLi9EEEENST_IJLi10ELi11EEEENST_IJLi12ELi13EEEENST_IJLi14EEEES15_S16_S18_S17_NST_IJLi19ELi20EEEENST_IJLi21EEEEEEENST_IJLi19ELi21ELi20EEEElEENSB_INS5_IJSR_SP_SP_SR_SG_EEENS5_IJSU_SV_SW_SY_SX_EEENS5_IJNST_IJLi1ELi2EEEESX_SY_NST_IJLi5ELi6EEEES11_EEENST_IJLi5ELi7ELi6EEEElEENSB_INS5_IJSK_SP_SP_EEENS5_IJSU_SV_SW_EEENS5_IJS1M_SX_SY_EEENST_IJLi3ELi4EEEElEELi128ELi128ELi16ELi2ELi4ELi4ELi1ENST_IJLi8ELi2EEEES1W_NST_IJLi8ELi1ELi1ELi2EEEENST_IJLi2ELi1ELi128ELi1EEEENST_IJLi1ELi2ELi0ELi3EEEES1Z_NST_IJLi4ELi1ELi1ELi2EEEES1Z_NST_IJLi1ELi1ELi1ELi2EEEES1X_S1Y_S1Z_S1Z_S20_S1Z_S21_NST_IJLi0ELi1ELi2ELi3ELi4ELi5EEEELi5ELi4EEEDF16_NS5_IJPKDF16_EEEDF16_S8_S8_S9_NSB_INS5_IJSE_SG_SI_SI_SG_SG_SK_SK_SG_SN_SN_SP_SP_SR_SG_SG_NSQ_INS5_IJiNS_17integral_constantIiLi128EEEEEELb0EEENSF_INS27_IiLi2EEEEEEEENS5_IJSU_SV_SW_SX_SY_SZ_S10_S11_S12_S13_S14_S15_S16_S17_S18_NST_IJLi19EEEES1G_NST_IJLi20EEEEEEENS5_IJS1A_SZ_S10_S11_S12_S1B_S1C_S1D_S1E_S15_S16_S18_S17_S1F_S1G_NST_IJLi22EEEENST_IJLi23ELi24EEEENST_IJLi25EEEEEEENST_IJLi22ELi23ELi24ELi25EEEElEENSB_INS5_IJSR_SP_SP_SR_SG_SG_S2A_S2C_EEENS5_IJSU_SV_SW_SY_SX_SZ_S11_S10_EEENS5_IJS1M_SX_SY_S1N_S11_S12_NST_IJLi9ELi10EEEENST_IJLi11EEEEEEENST_IJLi8ELi9ELi10ELi11EEEElEENS5_IJNSB_INS5_IJSK_SP_SP_NSQ_INS5_IJiS2B_NS27_IiLi64EEEEEELb0EEES2W_EEENS5_IJSU_SV_SW_SX_SY_EEENS5_IJS1M_SX_SY_NST_IJLi5ELi6ELi7EEEENST_IJLi8ELi9ELi10EEEEEEENST_IJLi5ELi6ELi7ELi8ELi9ELi10EEEElEEEEES33_NS_31BlockToCTileMap_M00_N00_M01_N01ILi128ELi128ES1V_Lb0EEENS1_30ComputePtrOffsetOfStridedBatchILi1ELi1ELi1EvEELb1ELb0EEEvPKT0_S3B_T1_PT2_T3_T4_T5_iT6_T7_T8_T9_T10_T11_.kd
    .uniform_work_group_size: 1
    .uses_dynamic_stack: false
    .vgpr_count:     127
    .vgpr_spill_count: 0
    .wavefront_size: 32
    .workgroup_processor_mode: 1
  - .args:
      - .actual_access:  read_only
        .address_space:  global
        .offset:         0
        .size:           8
        .value_kind:     global_buffer
      - .actual_access:  read_only
        .address_space:  global
        .offset:         8
        .size:           8
        .value_kind:     global_buffer
      - .address_space:  global
        .offset:         16
        .size:           8
        .value_kind:     global_buffer
      - .actual_access:  write_only
        .address_space:  global
        .offset:         24
        .size:           8
        .value_kind:     global_buffer
      - .offset:         32
        .size:           1
        .value_kind:     by_value
      - .offset:         33
        .size:           1
        .value_kind:     by_value
      - .offset:         34
        .size:           1
        .value_kind:     by_value
      - .offset:         36
        .size:           4
        .value_kind:     by_value
      - .offset:         40
        .size:           264
        .value_kind:     by_value
      - .offset:         304
        .size:           96
        .value_kind:     by_value
      - .offset:         400
        .size:           80
        .value_kind:     by_value
      - .offset:         480
        .size:           80
        .value_kind:     by_value
      - .offset:         560
        .size:           112
        .value_kind:     by_value
      - .offset:         672
        .size:           40
        .value_kind:     by_value
      - .offset:         712
        .size:           4
        .value_kind:     hidden_block_count_x
      - .offset:         716
        .size:           4
        .value_kind:     hidden_block_count_y
      - .offset:         720
        .size:           4
        .value_kind:     hidden_block_count_z
      - .offset:         724
        .size:           2
        .value_kind:     hidden_group_size_x
      - .offset:         726
        .size:           2
        .value_kind:     hidden_group_size_y
      - .offset:         728
        .size:           2
        .value_kind:     hidden_group_size_z
      - .offset:         730
        .size:           2
        .value_kind:     hidden_remainder_x
      - .offset:         732
        .size:           2
        .value_kind:     hidden_remainder_y
      - .offset:         734
        .size:           2
        .value_kind:     hidden_remainder_z
      - .offset:         752
        .size:           8
        .value_kind:     hidden_global_offset_x
      - .offset:         760
        .size:           8
        .value_kind:     hidden_global_offset_y
      - .offset:         768
        .size:           8
        .value_kind:     hidden_global_offset_z
      - .offset:         776
        .size:           2
        .value_kind:     hidden_grid_dims
    .group_segment_fixed_size: 32768
    .kernarg_segment_align: 8
    .kernarg_segment_size: 968
    .language:       OpenCL C
    .language_version:
      - 2
      - 0
    .max_flat_workgroup_size: 256
    .name:           _ZN2ck16tensor_operation6device12_GLOBAL__N_137kernel_grouped_conv_fwd_dl_multiple_dINS_32GridwiseGemmDlMultipleD_km_kn_mnILi256EDF16_fNS_5TupleIJDF16_EEEDF16_NS0_12element_wise11PassThroughES8_NS7_7AddReluELNS_25InMemoryDataOperationEnumE0ENS_16TensorDescriptorINS5_IJNS_5EmbedINS5_IJiiiiEEESD_Lb0EEENS_11PassThroughIiEENS_3PadIiiiLb0EEESI_SG_SG_NSC_INS5_IJiiEEESJ_Lb0EEESK_SG_NS_23Merge_v2_magic_divisionINS5_IJiiiEEEEESN_NS_8RightPadIiiLb0EEESP_NS_7UnMergeISJ_Lb0EEESG_EEENS5_IJNS_8SequenceIJLi0EEEENST_IJLi1EEEENST_IJLi2EEEENST_IJLi3EEEENST_IJLi4EEEENST_IJLi5EEEENST_IJLi6EEEENST_IJLi7EEEENST_IJLi8EEEENST_IJLi9ELi11ELi13EEEENST_IJLi10ELi12ELi14EEEENST_IJLi15EEEENST_IJLi16EEEENST_IJLi18EEEENST_IJLi17EEEEEEENS5_IJNST_IJLi1ELi2ELi3ELi4EEEESZ_S10_S11_S12_NST_IJLi9EEEENST_IJLi10ELi11EEEENST_IJLi12ELi13EEEENST_IJLi14EEEES15_S16_S18_S17_NST_IJLi19ELi20EEEENST_IJLi21EEEEEEENST_IJLi19ELi21ELi20EEEElEENSB_INS5_IJSR_SP_SP_SR_SG_EEENS5_IJSU_SV_SW_SY_SX_EEENS5_IJNST_IJLi1ELi2EEEESX_SY_NST_IJLi5ELi6EEEES11_EEENST_IJLi5ELi7ELi6EEEElEENSB_INS5_IJSK_SP_SP_EEENS5_IJSU_SV_SW_EEENS5_IJS1M_SX_SY_EEENST_IJLi3ELi4EEEElEELi128ELi128ELi16ELi2ELi4ELi4ELi1ENST_IJLi8ELi2EEEES1W_NST_IJLi8ELi1ELi1ELi2EEEENST_IJLi2ELi1ELi128ELi1EEEENST_IJLi1ELi2ELi0ELi3EEEES1Z_NST_IJLi4ELi1ELi1ELi2EEEES1Z_NST_IJLi1ELi1ELi1ELi2EEEES1X_S1Y_S1Z_S1Z_S20_S1Z_S21_NST_IJLi0ELi1ELi2ELi3ELi4ELi5EEEELi5ELi4EEEDF16_NS5_IJPKDF16_EEEDF16_S8_S8_S9_NSB_INS5_IJSE_SG_SI_SI_SG_SG_SK_SK_SG_SN_SN_SP_SP_SR_SG_SG_NSQ_INS5_IJiNS_17integral_constantIiLi128EEEEEELb0EEENSF_INS27_IiLi2EEEEEEEENS5_IJSU_SV_SW_SX_SY_SZ_S10_S11_S12_S13_S14_S15_S16_S17_S18_NST_IJLi19EEEES1G_NST_IJLi20EEEEEEENS5_IJS1A_SZ_S10_S11_S12_S1B_S1C_S1D_S1E_S15_S16_S18_S17_S1F_S1G_NST_IJLi22EEEENST_IJLi23ELi24EEEENST_IJLi25EEEEEEENST_IJLi22ELi23ELi24ELi25EEEElEENSB_INS5_IJSR_SP_SP_SR_SG_SG_S2A_S2C_EEENS5_IJSU_SV_SW_SY_SX_SZ_S11_S10_EEENS5_IJS1M_SX_SY_S1N_S11_S12_NST_IJLi9ELi10EEEENST_IJLi11EEEEEEENST_IJLi8ELi9ELi10ELi11EEEElEENS5_IJNSB_INS5_IJSK_SP_SP_NSQ_INS5_IJiS2B_NS27_IiLi64EEEEEELb0EEES2W_EEENS5_IJSU_SV_SW_SX_SY_EEENS5_IJS1M_SX_SY_NST_IJLi5ELi6ELi7EEEENST_IJLi8ELi9ELi10EEEEEEENST_IJLi5ELi6ELi7ELi8ELi9ELi10EEEElEEEEES33_NS_31BlockToCTileMap_M00_N00_M01_N01ILi128ELi128ES1V_Lb0EEENS1_30ComputePtrOffsetOfStridedBatchILi1ELi1ELi1EvEELb0ELb1EEEvPKT0_S3B_T1_PT2_T3_T4_T5_iT6_T7_T8_T9_T10_T11_
    .private_segment_fixed_size: 0
    .sgpr_count:     64
    .sgpr_spill_count: 0
    .symbol:         _ZN2ck16tensor_operation6device12_GLOBAL__N_137kernel_grouped_conv_fwd_dl_multiple_dINS_32GridwiseGemmDlMultipleD_km_kn_mnILi256EDF16_fNS_5TupleIJDF16_EEEDF16_NS0_12element_wise11PassThroughES8_NS7_7AddReluELNS_25InMemoryDataOperationEnumE0ENS_16TensorDescriptorINS5_IJNS_5EmbedINS5_IJiiiiEEESD_Lb0EEENS_11PassThroughIiEENS_3PadIiiiLb0EEESI_SG_SG_NSC_INS5_IJiiEEESJ_Lb0EEESK_SG_NS_23Merge_v2_magic_divisionINS5_IJiiiEEEEESN_NS_8RightPadIiiLb0EEESP_NS_7UnMergeISJ_Lb0EEESG_EEENS5_IJNS_8SequenceIJLi0EEEENST_IJLi1EEEENST_IJLi2EEEENST_IJLi3EEEENST_IJLi4EEEENST_IJLi5EEEENST_IJLi6EEEENST_IJLi7EEEENST_IJLi8EEEENST_IJLi9ELi11ELi13EEEENST_IJLi10ELi12ELi14EEEENST_IJLi15EEEENST_IJLi16EEEENST_IJLi18EEEENST_IJLi17EEEEEEENS5_IJNST_IJLi1ELi2ELi3ELi4EEEESZ_S10_S11_S12_NST_IJLi9EEEENST_IJLi10ELi11EEEENST_IJLi12ELi13EEEENST_IJLi14EEEES15_S16_S18_S17_NST_IJLi19ELi20EEEENST_IJLi21EEEEEEENST_IJLi19ELi21ELi20EEEElEENSB_INS5_IJSR_SP_SP_SR_SG_EEENS5_IJSU_SV_SW_SY_SX_EEENS5_IJNST_IJLi1ELi2EEEESX_SY_NST_IJLi5ELi6EEEES11_EEENST_IJLi5ELi7ELi6EEEElEENSB_INS5_IJSK_SP_SP_EEENS5_IJSU_SV_SW_EEENS5_IJS1M_SX_SY_EEENST_IJLi3ELi4EEEElEELi128ELi128ELi16ELi2ELi4ELi4ELi1ENST_IJLi8ELi2EEEES1W_NST_IJLi8ELi1ELi1ELi2EEEENST_IJLi2ELi1ELi128ELi1EEEENST_IJLi1ELi2ELi0ELi3EEEES1Z_NST_IJLi4ELi1ELi1ELi2EEEES1Z_NST_IJLi1ELi1ELi1ELi2EEEES1X_S1Y_S1Z_S1Z_S20_S1Z_S21_NST_IJLi0ELi1ELi2ELi3ELi4ELi5EEEELi5ELi4EEEDF16_NS5_IJPKDF16_EEEDF16_S8_S8_S9_NSB_INS5_IJSE_SG_SI_SI_SG_SG_SK_SK_SG_SN_SN_SP_SP_SR_SG_SG_NSQ_INS5_IJiNS_17integral_constantIiLi128EEEEEELb0EEENSF_INS27_IiLi2EEEEEEEENS5_IJSU_SV_SW_SX_SY_SZ_S10_S11_S12_S13_S14_S15_S16_S17_S18_NST_IJLi19EEEES1G_NST_IJLi20EEEEEEENS5_IJS1A_SZ_S10_S11_S12_S1B_S1C_S1D_S1E_S15_S16_S18_S17_S1F_S1G_NST_IJLi22EEEENST_IJLi23ELi24EEEENST_IJLi25EEEEEEENST_IJLi22ELi23ELi24ELi25EEEElEENSB_INS5_IJSR_SP_SP_SR_SG_SG_S2A_S2C_EEENS5_IJSU_SV_SW_SY_SX_SZ_S11_S10_EEENS5_IJS1M_SX_SY_S1N_S11_S12_NST_IJLi9ELi10EEEENST_IJLi11EEEEEEENST_IJLi8ELi9ELi10ELi11EEEElEENS5_IJNSB_INS5_IJSK_SP_SP_NSQ_INS5_IJiS2B_NS27_IiLi64EEEEEELb0EEES2W_EEENS5_IJSU_SV_SW_SX_SY_EEENS5_IJS1M_SX_SY_NST_IJLi5ELi6ELi7EEEENST_IJLi8ELi9ELi10EEEEEEENST_IJLi5ELi6ELi7ELi8ELi9ELi10EEEElEEEEES33_NS_31BlockToCTileMap_M00_N00_M01_N01ILi128ELi128ES1V_Lb0EEENS1_30ComputePtrOffsetOfStridedBatchILi1ELi1ELi1EvEELb0ELb1EEEvPKT0_S3B_T1_PT2_T3_T4_T5_iT6_T7_T8_T9_T10_T11_.kd
    .uniform_work_group_size: 1
    .uses_dynamic_stack: false
    .vgpr_count:     121
    .vgpr_spill_count: 0
    .wavefront_size: 32
    .workgroup_processor_mode: 1
  - .args:
      - .actual_access:  read_only
        .address_space:  global
        .offset:         0
        .size:           8
        .value_kind:     global_buffer
      - .actual_access:  read_only
        .address_space:  global
        .offset:         8
        .size:           8
        .value_kind:     global_buffer
      - .address_space:  global
        .offset:         16
        .size:           8
        .value_kind:     global_buffer
      - .actual_access:  write_only
        .address_space:  global
        .offset:         24
        .size:           8
        .value_kind:     global_buffer
      - .offset:         32
        .size:           1
        .value_kind:     by_value
      - .offset:         33
        .size:           1
        .value_kind:     by_value
      - .offset:         34
        .size:           1
        .value_kind:     by_value
      - .offset:         36
        .size:           4
        .value_kind:     by_value
      - .offset:         40
        .size:           264
        .value_kind:     by_value
      - .offset:         304
        .size:           96
        .value_kind:     by_value
      - .offset:         400
        .size:           80
        .value_kind:     by_value
      - .offset:         480
        .size:           80
        .value_kind:     by_value
      - .offset:         560
        .size:           112
        .value_kind:     by_value
      - .offset:         672
        .size:           40
        .value_kind:     by_value
      - .offset:         712
        .size:           4
        .value_kind:     hidden_block_count_x
      - .offset:         716
        .size:           4
        .value_kind:     hidden_block_count_y
      - .offset:         720
        .size:           4
        .value_kind:     hidden_block_count_z
      - .offset:         724
        .size:           2
        .value_kind:     hidden_group_size_x
      - .offset:         726
        .size:           2
        .value_kind:     hidden_group_size_y
      - .offset:         728
        .size:           2
        .value_kind:     hidden_group_size_z
      - .offset:         730
        .size:           2
        .value_kind:     hidden_remainder_x
      - .offset:         732
        .size:           2
        .value_kind:     hidden_remainder_y
      - .offset:         734
        .size:           2
        .value_kind:     hidden_remainder_z
      - .offset:         752
        .size:           8
        .value_kind:     hidden_global_offset_x
      - .offset:         760
        .size:           8
        .value_kind:     hidden_global_offset_y
      - .offset:         768
        .size:           8
        .value_kind:     hidden_global_offset_z
      - .offset:         776
        .size:           2
        .value_kind:     hidden_grid_dims
    .group_segment_fixed_size: 32768
    .kernarg_segment_align: 8
    .kernarg_segment_size: 968
    .language:       OpenCL C
    .language_version:
      - 2
      - 0
    .max_flat_workgroup_size: 256
    .name:           _ZN2ck16tensor_operation6device12_GLOBAL__N_137kernel_grouped_conv_fwd_dl_multiple_dINS_32GridwiseGemmDlMultipleD_km_kn_mnILi256EDF16_fNS_5TupleIJDF16_EEEDF16_NS0_12element_wise11PassThroughES8_NS7_7AddReluELNS_25InMemoryDataOperationEnumE0ENS_16TensorDescriptorINS5_IJNS_5EmbedINS5_IJiiiiEEESD_Lb0EEENS_11PassThroughIiEENS_3PadIiiiLb0EEESI_SG_SG_NSC_INS5_IJiiEEESJ_Lb0EEESK_SG_NS_23Merge_v2_magic_divisionINS5_IJiiiEEEEESN_NS_8RightPadIiiLb0EEESP_NS_7UnMergeISJ_Lb0EEESG_EEENS5_IJNS_8SequenceIJLi0EEEENST_IJLi1EEEENST_IJLi2EEEENST_IJLi3EEEENST_IJLi4EEEENST_IJLi5EEEENST_IJLi6EEEENST_IJLi7EEEENST_IJLi8EEEENST_IJLi9ELi11ELi13EEEENST_IJLi10ELi12ELi14EEEENST_IJLi15EEEENST_IJLi16EEEENST_IJLi18EEEENST_IJLi17EEEEEEENS5_IJNST_IJLi1ELi2ELi3ELi4EEEESZ_S10_S11_S12_NST_IJLi9EEEENST_IJLi10ELi11EEEENST_IJLi12ELi13EEEENST_IJLi14EEEES15_S16_S18_S17_NST_IJLi19ELi20EEEENST_IJLi21EEEEEEENST_IJLi19ELi21ELi20EEEElEENSB_INS5_IJSR_SP_SP_SR_SG_EEENS5_IJSU_SV_SW_SY_SX_EEENS5_IJNST_IJLi1ELi2EEEESX_SY_NST_IJLi5ELi6EEEES11_EEENST_IJLi5ELi7ELi6EEEElEENSB_INS5_IJSK_SP_SP_EEENS5_IJSU_SV_SW_EEENS5_IJS1M_SX_SY_EEENST_IJLi3ELi4EEEElEELi128ELi128ELi16ELi2ELi4ELi4ELi1ENST_IJLi8ELi2EEEES1W_NST_IJLi8ELi1ELi1ELi2EEEENST_IJLi2ELi1ELi128ELi1EEEENST_IJLi1ELi2ELi0ELi3EEEES1Z_NST_IJLi4ELi1ELi1ELi2EEEES1Z_NST_IJLi1ELi1ELi1ELi2EEEES1X_S1Y_S1Z_S1Z_S20_S1Z_S21_NST_IJLi0ELi1ELi2ELi3ELi4ELi5EEEELi5ELi4EEEDF16_NS5_IJPKDF16_EEEDF16_S8_S8_S9_NSB_INS5_IJSE_SG_SI_SI_SG_SG_SK_SK_SG_SN_SN_SP_SP_SR_SG_SG_NSQ_INS5_IJiNS_17integral_constantIiLi128EEEEEELb0EEENSF_INS27_IiLi2EEEEEEEENS5_IJSU_SV_SW_SX_SY_SZ_S10_S11_S12_S13_S14_S15_S16_S17_S18_NST_IJLi19EEEES1G_NST_IJLi20EEEEEEENS5_IJS1A_SZ_S10_S11_S12_S1B_S1C_S1D_S1E_S15_S16_S18_S17_S1F_S1G_NST_IJLi22EEEENST_IJLi23ELi24EEEENST_IJLi25EEEEEEENST_IJLi22ELi23ELi24ELi25EEEElEENSB_INS5_IJSR_SP_SP_SR_SG_SG_S2A_S2C_EEENS5_IJSU_SV_SW_SY_SX_SZ_S11_S10_EEENS5_IJS1M_SX_SY_S1N_S11_S12_NST_IJLi9ELi10EEEENST_IJLi11EEEEEEENST_IJLi8ELi9ELi10ELi11EEEElEENS5_IJNSB_INS5_IJSK_SP_SP_NSQ_INS5_IJiS2B_NS27_IiLi64EEEEEELb0EEES2W_EEENS5_IJSU_SV_SW_SX_SY_EEENS5_IJS1M_SX_SY_NST_IJLi5ELi6ELi7EEEENST_IJLi8ELi9ELi10EEEEEEENST_IJLi5ELi6ELi7ELi8ELi9ELi10EEEElEEEEES33_NS_31BlockToCTileMap_M00_N00_M01_N01ILi128ELi128ES1V_Lb0EEENS1_30ComputePtrOffsetOfStridedBatchILi1ELi1ELi1EvEELb0ELb0EEEvPKT0_S3B_T1_PT2_T3_T4_T5_iT6_T7_T8_T9_T10_T11_
    .private_segment_fixed_size: 0
    .sgpr_count:     61
    .sgpr_spill_count: 0
    .symbol:         _ZN2ck16tensor_operation6device12_GLOBAL__N_137kernel_grouped_conv_fwd_dl_multiple_dINS_32GridwiseGemmDlMultipleD_km_kn_mnILi256EDF16_fNS_5TupleIJDF16_EEEDF16_NS0_12element_wise11PassThroughES8_NS7_7AddReluELNS_25InMemoryDataOperationEnumE0ENS_16TensorDescriptorINS5_IJNS_5EmbedINS5_IJiiiiEEESD_Lb0EEENS_11PassThroughIiEENS_3PadIiiiLb0EEESI_SG_SG_NSC_INS5_IJiiEEESJ_Lb0EEESK_SG_NS_23Merge_v2_magic_divisionINS5_IJiiiEEEEESN_NS_8RightPadIiiLb0EEESP_NS_7UnMergeISJ_Lb0EEESG_EEENS5_IJNS_8SequenceIJLi0EEEENST_IJLi1EEEENST_IJLi2EEEENST_IJLi3EEEENST_IJLi4EEEENST_IJLi5EEEENST_IJLi6EEEENST_IJLi7EEEENST_IJLi8EEEENST_IJLi9ELi11ELi13EEEENST_IJLi10ELi12ELi14EEEENST_IJLi15EEEENST_IJLi16EEEENST_IJLi18EEEENST_IJLi17EEEEEEENS5_IJNST_IJLi1ELi2ELi3ELi4EEEESZ_S10_S11_S12_NST_IJLi9EEEENST_IJLi10ELi11EEEENST_IJLi12ELi13EEEENST_IJLi14EEEES15_S16_S18_S17_NST_IJLi19ELi20EEEENST_IJLi21EEEEEEENST_IJLi19ELi21ELi20EEEElEENSB_INS5_IJSR_SP_SP_SR_SG_EEENS5_IJSU_SV_SW_SY_SX_EEENS5_IJNST_IJLi1ELi2EEEESX_SY_NST_IJLi5ELi6EEEES11_EEENST_IJLi5ELi7ELi6EEEElEENSB_INS5_IJSK_SP_SP_EEENS5_IJSU_SV_SW_EEENS5_IJS1M_SX_SY_EEENST_IJLi3ELi4EEEElEELi128ELi128ELi16ELi2ELi4ELi4ELi1ENST_IJLi8ELi2EEEES1W_NST_IJLi8ELi1ELi1ELi2EEEENST_IJLi2ELi1ELi128ELi1EEEENST_IJLi1ELi2ELi0ELi3EEEES1Z_NST_IJLi4ELi1ELi1ELi2EEEES1Z_NST_IJLi1ELi1ELi1ELi2EEEES1X_S1Y_S1Z_S1Z_S20_S1Z_S21_NST_IJLi0ELi1ELi2ELi3ELi4ELi5EEEELi5ELi4EEEDF16_NS5_IJPKDF16_EEEDF16_S8_S8_S9_NSB_INS5_IJSE_SG_SI_SI_SG_SG_SK_SK_SG_SN_SN_SP_SP_SR_SG_SG_NSQ_INS5_IJiNS_17integral_constantIiLi128EEEEEELb0EEENSF_INS27_IiLi2EEEEEEEENS5_IJSU_SV_SW_SX_SY_SZ_S10_S11_S12_S13_S14_S15_S16_S17_S18_NST_IJLi19EEEES1G_NST_IJLi20EEEEEEENS5_IJS1A_SZ_S10_S11_S12_S1B_S1C_S1D_S1E_S15_S16_S18_S17_S1F_S1G_NST_IJLi22EEEENST_IJLi23ELi24EEEENST_IJLi25EEEEEEENST_IJLi22ELi23ELi24ELi25EEEElEENSB_INS5_IJSR_SP_SP_SR_SG_SG_S2A_S2C_EEENS5_IJSU_SV_SW_SY_SX_SZ_S11_S10_EEENS5_IJS1M_SX_SY_S1N_S11_S12_NST_IJLi9ELi10EEEENST_IJLi11EEEEEEENST_IJLi8ELi9ELi10ELi11EEEElEENS5_IJNSB_INS5_IJSK_SP_SP_NSQ_INS5_IJiS2B_NS27_IiLi64EEEEEELb0EEES2W_EEENS5_IJSU_SV_SW_SX_SY_EEENS5_IJS1M_SX_SY_NST_IJLi5ELi6ELi7EEEENST_IJLi8ELi9ELi10EEEEEEENST_IJLi5ELi6ELi7ELi8ELi9ELi10EEEElEEEEES33_NS_31BlockToCTileMap_M00_N00_M01_N01ILi128ELi128ES1V_Lb0EEENS1_30ComputePtrOffsetOfStridedBatchILi1ELi1ELi1EvEELb0ELb0EEEvPKT0_S3B_T1_PT2_T3_T4_T5_iT6_T7_T8_T9_T10_T11_.kd
    .uniform_work_group_size: 1
    .uses_dynamic_stack: false
    .vgpr_count:     124
    .vgpr_spill_count: 0
    .wavefront_size: 32
    .workgroup_processor_mode: 1
  - .args:
      - .actual_access:  read_only
        .address_space:  global
        .offset:         0
        .size:           8
        .value_kind:     global_buffer
      - .actual_access:  read_only
        .address_space:  global
        .offset:         8
        .size:           8
        .value_kind:     global_buffer
      - .address_space:  global
        .offset:         16
        .size:           8
        .value_kind:     global_buffer
      - .actual_access:  write_only
        .address_space:  global
        .offset:         24
        .size:           8
        .value_kind:     global_buffer
      - .offset:         32
        .size:           1
        .value_kind:     by_value
      - .offset:         33
        .size:           1
        .value_kind:     by_value
      - .offset:         34
        .size:           1
        .value_kind:     by_value
      - .offset:         36
        .size:           4
        .value_kind:     by_value
      - .offset:         40
        .size:           320
        .value_kind:     by_value
      - .offset:         360
        .size:           96
        .value_kind:     by_value
      - .offset:         456
        .size:           80
        .value_kind:     by_value
      - .offset:         536
        .size:           80
        .value_kind:     by_value
      - .offset:         616
        .size:           112
        .value_kind:     by_value
      - .offset:         728
        .size:           40
        .value_kind:     by_value
      - .offset:         768
        .size:           4
        .value_kind:     hidden_block_count_x
      - .offset:         772
        .size:           4
        .value_kind:     hidden_block_count_y
      - .offset:         776
        .size:           4
        .value_kind:     hidden_block_count_z
      - .offset:         780
        .size:           2
        .value_kind:     hidden_group_size_x
      - .offset:         782
        .size:           2
        .value_kind:     hidden_group_size_y
      - .offset:         784
        .size:           2
        .value_kind:     hidden_group_size_z
      - .offset:         786
        .size:           2
        .value_kind:     hidden_remainder_x
      - .offset:         788
        .size:           2
        .value_kind:     hidden_remainder_y
      - .offset:         790
        .size:           2
        .value_kind:     hidden_remainder_z
      - .offset:         808
        .size:           8
        .value_kind:     hidden_global_offset_x
      - .offset:         816
        .size:           8
        .value_kind:     hidden_global_offset_y
      - .offset:         824
        .size:           8
        .value_kind:     hidden_global_offset_z
      - .offset:         832
        .size:           2
        .value_kind:     hidden_grid_dims
    .group_segment_fixed_size: 32768
    .kernarg_segment_align: 8
    .kernarg_segment_size: 1024
    .language:       OpenCL C
    .language_version:
      - 2
      - 0
    .max_flat_workgroup_size: 256
    .name:           _ZN2ck16tensor_operation6device12_GLOBAL__N_137kernel_grouped_conv_fwd_dl_multiple_dINS_32GridwiseGemmDlMultipleD_km_kn_mnILi256EDF16_fNS_5TupleIJDF16_EEEDF16_NS0_12element_wise11PassThroughES8_NS7_7AddReluELNS_25InMemoryDataOperationEnumE0ENS_16TensorDescriptorINS5_IJNS_5EmbedINS5_IJiiiiiEEESD_Lb0EEENS_11PassThroughIiEENS_3PadIiiiLb0EEESI_SI_SG_SG_NSC_INS5_IJiiEEESJ_Lb0EEESK_SK_SG_NS_23Merge_v2_magic_divisionINS5_IJiiiiEEEEESN_NS_8RightPadIiiLb0EEESP_NS_7UnMergeISJ_Lb0EEESG_EEENS5_IJNS_8SequenceIJLi0EEEENST_IJLi1EEEENST_IJLi2EEEENST_IJLi3EEEENST_IJLi4EEEENST_IJLi5EEEENST_IJLi6EEEENST_IJLi7EEEENST_IJLi8EEEENST_IJLi9EEEENST_IJLi10EEEENST_IJLi11ELi13ELi15ELi17EEEENST_IJLi12ELi14ELi16ELi18EEEENST_IJLi19EEEENST_IJLi20EEEENST_IJLi22EEEENST_IJLi21EEEEEEENS5_IJNST_IJLi1ELi2ELi3ELi4ELi5EEEES10_S11_S12_S13_S14_NST_IJLi11EEEENST_IJLi12ELi13EEEENST_IJLi14ELi15EEEENST_IJLi16ELi17EEEENST_IJLi18EEEES17_S18_S1A_S19_NST_IJLi23ELi24EEEENST_IJLi25EEEEEEENST_IJLi23ELi25ELi24EEEElEENSB_INS5_IJSR_SP_SP_SR_SG_EEENS5_IJSU_SV_SW_SY_SX_EEENS5_IJNST_IJLi1ELi2EEEESX_SY_NST_IJLi5ELi6EEEES11_EEENST_IJLi5ELi7ELi6EEEElEENSB_INS5_IJSK_SP_SP_EEENS5_IJSU_SV_SW_EEENS5_IJS1P_SX_SY_EEENST_IJLi3ELi4EEEElEELi128ELi128ELi16ELi2ELi4ELi4ELi1ENST_IJLi8ELi2EEEES1Z_NST_IJLi8ELi1ELi1ELi2EEEENST_IJLi2ELi1ELi128ELi1EEEENST_IJLi1ELi2ELi0ELi3EEEES22_NST_IJLi4ELi1ELi1ELi2EEEES22_NST_IJLi1ELi1ELi1ELi2EEEES20_S21_S22_S22_S23_S22_S24_NST_IJLi0ELi1ELi2ELi3ELi4ELi5EEEELi5ELi4EEEDF16_NS5_IJPKDF16_EEEDF16_S8_S8_S9_NSB_INS5_IJSE_SG_SI_SI_SI_SG_SG_SK_SK_SK_SG_SN_SN_SP_SP_SR_SG_SG_NSQ_INS5_IJiNS_17integral_constantIiLi128EEEEEELb0EEENSF_INS2A_IiLi2EEEEEEEENS5_IJSU_SV_SW_SX_SY_SZ_S10_S11_S12_S13_S14_S15_S16_S17_S18_S19_S1A_NST_IJLi23EEEES1J_NST_IJLi24EEEEEEENS5_IJS1C_S10_S11_S12_S13_S14_S1D_S1E_S1F_S1G_S1H_S17_S18_S1A_S19_S1I_S1J_NST_IJLi26EEEENST_IJLi27ELi28EEEENST_IJLi29EEEEEEENST_IJLi26ELi27ELi28ELi29EEEElEENSB_INS5_IJSR_SP_SP_SR_SG_SG_S2D_S2F_EEENS5_IJSU_SV_SW_SY_SX_SZ_S11_S10_EEENS5_IJS1P_SX_SY_S1Q_S11_S12_NST_IJLi9ELi10EEEES1D_EEENST_IJLi8ELi9ELi10ELi11EEEElEENS5_IJNSB_INS5_IJSK_SP_SP_NSQ_INS5_IJiS2E_NS2A_IiLi64EEEEEELb0EEES2Y_EEENS5_IJSU_SV_SW_SX_SY_EEENS5_IJS1P_SX_SY_NST_IJLi5ELi6ELi7EEEENST_IJLi8ELi9ELi10EEEEEEENST_IJLi5ELi6ELi7ELi8ELi9ELi10EEEElEEEEES35_NS_31BlockToCTileMap_M00_N00_M01_N01ILi128ELi128ES1Y_Lb0EEENS1_30ComputePtrOffsetOfStridedBatchILi1ELi1ELi1EvEELb1ELb1EEEvPKT0_S3D_T1_PT2_T3_T4_T5_iT6_T7_T8_T9_T10_T11_
    .private_segment_fixed_size: 0
    .sgpr_count:     81
    .sgpr_spill_count: 0
    .symbol:         _ZN2ck16tensor_operation6device12_GLOBAL__N_137kernel_grouped_conv_fwd_dl_multiple_dINS_32GridwiseGemmDlMultipleD_km_kn_mnILi256EDF16_fNS_5TupleIJDF16_EEEDF16_NS0_12element_wise11PassThroughES8_NS7_7AddReluELNS_25InMemoryDataOperationEnumE0ENS_16TensorDescriptorINS5_IJNS_5EmbedINS5_IJiiiiiEEESD_Lb0EEENS_11PassThroughIiEENS_3PadIiiiLb0EEESI_SI_SG_SG_NSC_INS5_IJiiEEESJ_Lb0EEESK_SK_SG_NS_23Merge_v2_magic_divisionINS5_IJiiiiEEEEESN_NS_8RightPadIiiLb0EEESP_NS_7UnMergeISJ_Lb0EEESG_EEENS5_IJNS_8SequenceIJLi0EEEENST_IJLi1EEEENST_IJLi2EEEENST_IJLi3EEEENST_IJLi4EEEENST_IJLi5EEEENST_IJLi6EEEENST_IJLi7EEEENST_IJLi8EEEENST_IJLi9EEEENST_IJLi10EEEENST_IJLi11ELi13ELi15ELi17EEEENST_IJLi12ELi14ELi16ELi18EEEENST_IJLi19EEEENST_IJLi20EEEENST_IJLi22EEEENST_IJLi21EEEEEEENS5_IJNST_IJLi1ELi2ELi3ELi4ELi5EEEES10_S11_S12_S13_S14_NST_IJLi11EEEENST_IJLi12ELi13EEEENST_IJLi14ELi15EEEENST_IJLi16ELi17EEEENST_IJLi18EEEES17_S18_S1A_S19_NST_IJLi23ELi24EEEENST_IJLi25EEEEEEENST_IJLi23ELi25ELi24EEEElEENSB_INS5_IJSR_SP_SP_SR_SG_EEENS5_IJSU_SV_SW_SY_SX_EEENS5_IJNST_IJLi1ELi2EEEESX_SY_NST_IJLi5ELi6EEEES11_EEENST_IJLi5ELi7ELi6EEEElEENSB_INS5_IJSK_SP_SP_EEENS5_IJSU_SV_SW_EEENS5_IJS1P_SX_SY_EEENST_IJLi3ELi4EEEElEELi128ELi128ELi16ELi2ELi4ELi4ELi1ENST_IJLi8ELi2EEEES1Z_NST_IJLi8ELi1ELi1ELi2EEEENST_IJLi2ELi1ELi128ELi1EEEENST_IJLi1ELi2ELi0ELi3EEEES22_NST_IJLi4ELi1ELi1ELi2EEEES22_NST_IJLi1ELi1ELi1ELi2EEEES20_S21_S22_S22_S23_S22_S24_NST_IJLi0ELi1ELi2ELi3ELi4ELi5EEEELi5ELi4EEEDF16_NS5_IJPKDF16_EEEDF16_S8_S8_S9_NSB_INS5_IJSE_SG_SI_SI_SI_SG_SG_SK_SK_SK_SG_SN_SN_SP_SP_SR_SG_SG_NSQ_INS5_IJiNS_17integral_constantIiLi128EEEEEELb0EEENSF_INS2A_IiLi2EEEEEEEENS5_IJSU_SV_SW_SX_SY_SZ_S10_S11_S12_S13_S14_S15_S16_S17_S18_S19_S1A_NST_IJLi23EEEES1J_NST_IJLi24EEEEEEENS5_IJS1C_S10_S11_S12_S13_S14_S1D_S1E_S1F_S1G_S1H_S17_S18_S1A_S19_S1I_S1J_NST_IJLi26EEEENST_IJLi27ELi28EEEENST_IJLi29EEEEEEENST_IJLi26ELi27ELi28ELi29EEEElEENSB_INS5_IJSR_SP_SP_SR_SG_SG_S2D_S2F_EEENS5_IJSU_SV_SW_SY_SX_SZ_S11_S10_EEENS5_IJS1P_SX_SY_S1Q_S11_S12_NST_IJLi9ELi10EEEES1D_EEENST_IJLi8ELi9ELi10ELi11EEEElEENS5_IJNSB_INS5_IJSK_SP_SP_NSQ_INS5_IJiS2E_NS2A_IiLi64EEEEEELb0EEES2Y_EEENS5_IJSU_SV_SW_SX_SY_EEENS5_IJS1P_SX_SY_NST_IJLi5ELi6ELi7EEEENST_IJLi8ELi9ELi10EEEEEEENST_IJLi5ELi6ELi7ELi8ELi9ELi10EEEElEEEEES35_NS_31BlockToCTileMap_M00_N00_M01_N01ILi128ELi128ES1Y_Lb0EEENS1_30ComputePtrOffsetOfStridedBatchILi1ELi1ELi1EvEELb1ELb1EEEvPKT0_S3D_T1_PT2_T3_T4_T5_iT6_T7_T8_T9_T10_T11_.kd
    .uniform_work_group_size: 1
    .uses_dynamic_stack: false
    .vgpr_count:     143
    .vgpr_spill_count: 0
    .wavefront_size: 32
    .workgroup_processor_mode: 1
  - .args:
      - .actual_access:  read_only
        .address_space:  global
        .offset:         0
        .size:           8
        .value_kind:     global_buffer
      - .actual_access:  read_only
        .address_space:  global
        .offset:         8
        .size:           8
        .value_kind:     global_buffer
      - .address_space:  global
        .offset:         16
        .size:           8
        .value_kind:     global_buffer
      - .actual_access:  write_only
        .address_space:  global
        .offset:         24
        .size:           8
        .value_kind:     global_buffer
      - .offset:         32
        .size:           1
        .value_kind:     by_value
      - .offset:         33
        .size:           1
        .value_kind:     by_value
      - .offset:         34
        .size:           1
        .value_kind:     by_value
      - .offset:         36
        .size:           4
        .value_kind:     by_value
      - .offset:         40
        .size:           320
        .value_kind:     by_value
      - .offset:         360
        .size:           96
        .value_kind:     by_value
      - .offset:         456
        .size:           80
        .value_kind:     by_value
      - .offset:         536
        .size:           80
        .value_kind:     by_value
      - .offset:         616
        .size:           112
        .value_kind:     by_value
      - .offset:         728
        .size:           40
        .value_kind:     by_value
      - .offset:         768
        .size:           4
        .value_kind:     hidden_block_count_x
      - .offset:         772
        .size:           4
        .value_kind:     hidden_block_count_y
      - .offset:         776
        .size:           4
        .value_kind:     hidden_block_count_z
      - .offset:         780
        .size:           2
        .value_kind:     hidden_group_size_x
      - .offset:         782
        .size:           2
        .value_kind:     hidden_group_size_y
      - .offset:         784
        .size:           2
        .value_kind:     hidden_group_size_z
      - .offset:         786
        .size:           2
        .value_kind:     hidden_remainder_x
      - .offset:         788
        .size:           2
        .value_kind:     hidden_remainder_y
      - .offset:         790
        .size:           2
        .value_kind:     hidden_remainder_z
      - .offset:         808
        .size:           8
        .value_kind:     hidden_global_offset_x
      - .offset:         816
        .size:           8
        .value_kind:     hidden_global_offset_y
      - .offset:         824
        .size:           8
        .value_kind:     hidden_global_offset_z
      - .offset:         832
        .size:           2
        .value_kind:     hidden_grid_dims
    .group_segment_fixed_size: 32768
    .kernarg_segment_align: 8
    .kernarg_segment_size: 1024
    .language:       OpenCL C
    .language_version:
      - 2
      - 0
    .max_flat_workgroup_size: 256
    .name:           _ZN2ck16tensor_operation6device12_GLOBAL__N_137kernel_grouped_conv_fwd_dl_multiple_dINS_32GridwiseGemmDlMultipleD_km_kn_mnILi256EDF16_fNS_5TupleIJDF16_EEEDF16_NS0_12element_wise11PassThroughES8_NS7_7AddReluELNS_25InMemoryDataOperationEnumE0ENS_16TensorDescriptorINS5_IJNS_5EmbedINS5_IJiiiiiEEESD_Lb0EEENS_11PassThroughIiEENS_3PadIiiiLb0EEESI_SI_SG_SG_NSC_INS5_IJiiEEESJ_Lb0EEESK_SK_SG_NS_23Merge_v2_magic_divisionINS5_IJiiiiEEEEESN_NS_8RightPadIiiLb0EEESP_NS_7UnMergeISJ_Lb0EEESG_EEENS5_IJNS_8SequenceIJLi0EEEENST_IJLi1EEEENST_IJLi2EEEENST_IJLi3EEEENST_IJLi4EEEENST_IJLi5EEEENST_IJLi6EEEENST_IJLi7EEEENST_IJLi8EEEENST_IJLi9EEEENST_IJLi10EEEENST_IJLi11ELi13ELi15ELi17EEEENST_IJLi12ELi14ELi16ELi18EEEENST_IJLi19EEEENST_IJLi20EEEENST_IJLi22EEEENST_IJLi21EEEEEEENS5_IJNST_IJLi1ELi2ELi3ELi4ELi5EEEES10_S11_S12_S13_S14_NST_IJLi11EEEENST_IJLi12ELi13EEEENST_IJLi14ELi15EEEENST_IJLi16ELi17EEEENST_IJLi18EEEES17_S18_S1A_S19_NST_IJLi23ELi24EEEENST_IJLi25EEEEEEENST_IJLi23ELi25ELi24EEEElEENSB_INS5_IJSR_SP_SP_SR_SG_EEENS5_IJSU_SV_SW_SY_SX_EEENS5_IJNST_IJLi1ELi2EEEESX_SY_NST_IJLi5ELi6EEEES11_EEENST_IJLi5ELi7ELi6EEEElEENSB_INS5_IJSK_SP_SP_EEENS5_IJSU_SV_SW_EEENS5_IJS1P_SX_SY_EEENST_IJLi3ELi4EEEElEELi128ELi128ELi16ELi2ELi4ELi4ELi1ENST_IJLi8ELi2EEEES1Z_NST_IJLi8ELi1ELi1ELi2EEEENST_IJLi2ELi1ELi128ELi1EEEENST_IJLi1ELi2ELi0ELi3EEEES22_NST_IJLi4ELi1ELi1ELi2EEEES22_NST_IJLi1ELi1ELi1ELi2EEEES20_S21_S22_S22_S23_S22_S24_NST_IJLi0ELi1ELi2ELi3ELi4ELi5EEEELi5ELi4EEEDF16_NS5_IJPKDF16_EEEDF16_S8_S8_S9_NSB_INS5_IJSE_SG_SI_SI_SI_SG_SG_SK_SK_SK_SG_SN_SN_SP_SP_SR_SG_SG_NSQ_INS5_IJiNS_17integral_constantIiLi128EEEEEELb0EEENSF_INS2A_IiLi2EEEEEEEENS5_IJSU_SV_SW_SX_SY_SZ_S10_S11_S12_S13_S14_S15_S16_S17_S18_S19_S1A_NST_IJLi23EEEES1J_NST_IJLi24EEEEEEENS5_IJS1C_S10_S11_S12_S13_S14_S1D_S1E_S1F_S1G_S1H_S17_S18_S1A_S19_S1I_S1J_NST_IJLi26EEEENST_IJLi27ELi28EEEENST_IJLi29EEEEEEENST_IJLi26ELi27ELi28ELi29EEEElEENSB_INS5_IJSR_SP_SP_SR_SG_SG_S2D_S2F_EEENS5_IJSU_SV_SW_SY_SX_SZ_S11_S10_EEENS5_IJS1P_SX_SY_S1Q_S11_S12_NST_IJLi9ELi10EEEES1D_EEENST_IJLi8ELi9ELi10ELi11EEEElEENS5_IJNSB_INS5_IJSK_SP_SP_NSQ_INS5_IJiS2E_NS2A_IiLi64EEEEEELb0EEES2Y_EEENS5_IJSU_SV_SW_SX_SY_EEENS5_IJS1P_SX_SY_NST_IJLi5ELi6ELi7EEEENST_IJLi8ELi9ELi10EEEEEEENST_IJLi5ELi6ELi7ELi8ELi9ELi10EEEElEEEEES35_NS_31BlockToCTileMap_M00_N00_M01_N01ILi128ELi128ES1Y_Lb0EEENS1_30ComputePtrOffsetOfStridedBatchILi1ELi1ELi1EvEELb1ELb0EEEvPKT0_S3D_T1_PT2_T3_T4_T5_iT6_T7_T8_T9_T10_T11_
    .private_segment_fixed_size: 0
    .sgpr_count:     85
    .sgpr_spill_count: 0
    .symbol:         _ZN2ck16tensor_operation6device12_GLOBAL__N_137kernel_grouped_conv_fwd_dl_multiple_dINS_32GridwiseGemmDlMultipleD_km_kn_mnILi256EDF16_fNS_5TupleIJDF16_EEEDF16_NS0_12element_wise11PassThroughES8_NS7_7AddReluELNS_25InMemoryDataOperationEnumE0ENS_16TensorDescriptorINS5_IJNS_5EmbedINS5_IJiiiiiEEESD_Lb0EEENS_11PassThroughIiEENS_3PadIiiiLb0EEESI_SI_SG_SG_NSC_INS5_IJiiEEESJ_Lb0EEESK_SK_SG_NS_23Merge_v2_magic_divisionINS5_IJiiiiEEEEESN_NS_8RightPadIiiLb0EEESP_NS_7UnMergeISJ_Lb0EEESG_EEENS5_IJNS_8SequenceIJLi0EEEENST_IJLi1EEEENST_IJLi2EEEENST_IJLi3EEEENST_IJLi4EEEENST_IJLi5EEEENST_IJLi6EEEENST_IJLi7EEEENST_IJLi8EEEENST_IJLi9EEEENST_IJLi10EEEENST_IJLi11ELi13ELi15ELi17EEEENST_IJLi12ELi14ELi16ELi18EEEENST_IJLi19EEEENST_IJLi20EEEENST_IJLi22EEEENST_IJLi21EEEEEEENS5_IJNST_IJLi1ELi2ELi3ELi4ELi5EEEES10_S11_S12_S13_S14_NST_IJLi11EEEENST_IJLi12ELi13EEEENST_IJLi14ELi15EEEENST_IJLi16ELi17EEEENST_IJLi18EEEES17_S18_S1A_S19_NST_IJLi23ELi24EEEENST_IJLi25EEEEEEENST_IJLi23ELi25ELi24EEEElEENSB_INS5_IJSR_SP_SP_SR_SG_EEENS5_IJSU_SV_SW_SY_SX_EEENS5_IJNST_IJLi1ELi2EEEESX_SY_NST_IJLi5ELi6EEEES11_EEENST_IJLi5ELi7ELi6EEEElEENSB_INS5_IJSK_SP_SP_EEENS5_IJSU_SV_SW_EEENS5_IJS1P_SX_SY_EEENST_IJLi3ELi4EEEElEELi128ELi128ELi16ELi2ELi4ELi4ELi1ENST_IJLi8ELi2EEEES1Z_NST_IJLi8ELi1ELi1ELi2EEEENST_IJLi2ELi1ELi128ELi1EEEENST_IJLi1ELi2ELi0ELi3EEEES22_NST_IJLi4ELi1ELi1ELi2EEEES22_NST_IJLi1ELi1ELi1ELi2EEEES20_S21_S22_S22_S23_S22_S24_NST_IJLi0ELi1ELi2ELi3ELi4ELi5EEEELi5ELi4EEEDF16_NS5_IJPKDF16_EEEDF16_S8_S8_S9_NSB_INS5_IJSE_SG_SI_SI_SI_SG_SG_SK_SK_SK_SG_SN_SN_SP_SP_SR_SG_SG_NSQ_INS5_IJiNS_17integral_constantIiLi128EEEEEELb0EEENSF_INS2A_IiLi2EEEEEEEENS5_IJSU_SV_SW_SX_SY_SZ_S10_S11_S12_S13_S14_S15_S16_S17_S18_S19_S1A_NST_IJLi23EEEES1J_NST_IJLi24EEEEEEENS5_IJS1C_S10_S11_S12_S13_S14_S1D_S1E_S1F_S1G_S1H_S17_S18_S1A_S19_S1I_S1J_NST_IJLi26EEEENST_IJLi27ELi28EEEENST_IJLi29EEEEEEENST_IJLi26ELi27ELi28ELi29EEEElEENSB_INS5_IJSR_SP_SP_SR_SG_SG_S2D_S2F_EEENS5_IJSU_SV_SW_SY_SX_SZ_S11_S10_EEENS5_IJS1P_SX_SY_S1Q_S11_S12_NST_IJLi9ELi10EEEES1D_EEENST_IJLi8ELi9ELi10ELi11EEEElEENS5_IJNSB_INS5_IJSK_SP_SP_NSQ_INS5_IJiS2E_NS2A_IiLi64EEEEEELb0EEES2Y_EEENS5_IJSU_SV_SW_SX_SY_EEENS5_IJS1P_SX_SY_NST_IJLi5ELi6ELi7EEEENST_IJLi8ELi9ELi10EEEEEEENST_IJLi5ELi6ELi7ELi8ELi9ELi10EEEElEEEEES35_NS_31BlockToCTileMap_M00_N00_M01_N01ILi128ELi128ES1Y_Lb0EEENS1_30ComputePtrOffsetOfStridedBatchILi1ELi1ELi1EvEELb1ELb0EEEvPKT0_S3D_T1_PT2_T3_T4_T5_iT6_T7_T8_T9_T10_T11_.kd
    .uniform_work_group_size: 1
    .uses_dynamic_stack: false
    .vgpr_count:     146
    .vgpr_spill_count: 0
    .wavefront_size: 32
    .workgroup_processor_mode: 1
  - .args:
      - .actual_access:  read_only
        .address_space:  global
        .offset:         0
        .size:           8
        .value_kind:     global_buffer
      - .actual_access:  read_only
        .address_space:  global
        .offset:         8
        .size:           8
        .value_kind:     global_buffer
      - .address_space:  global
        .offset:         16
        .size:           8
        .value_kind:     global_buffer
      - .actual_access:  write_only
        .address_space:  global
        .offset:         24
        .size:           8
        .value_kind:     global_buffer
      - .offset:         32
        .size:           1
        .value_kind:     by_value
      - .offset:         33
        .size:           1
        .value_kind:     by_value
      - .offset:         34
        .size:           1
        .value_kind:     by_value
      - .offset:         36
        .size:           4
        .value_kind:     by_value
      - .offset:         40
        .size:           320
        .value_kind:     by_value
      - .offset:         360
        .size:           96
        .value_kind:     by_value
      - .offset:         456
        .size:           80
        .value_kind:     by_value
      - .offset:         536
        .size:           80
        .value_kind:     by_value
      - .offset:         616
        .size:           112
        .value_kind:     by_value
      - .offset:         728
        .size:           40
        .value_kind:     by_value
      - .offset:         768
        .size:           4
        .value_kind:     hidden_block_count_x
      - .offset:         772
        .size:           4
        .value_kind:     hidden_block_count_y
      - .offset:         776
        .size:           4
        .value_kind:     hidden_block_count_z
      - .offset:         780
        .size:           2
        .value_kind:     hidden_group_size_x
      - .offset:         782
        .size:           2
        .value_kind:     hidden_group_size_y
      - .offset:         784
        .size:           2
        .value_kind:     hidden_group_size_z
      - .offset:         786
        .size:           2
        .value_kind:     hidden_remainder_x
      - .offset:         788
        .size:           2
        .value_kind:     hidden_remainder_y
      - .offset:         790
        .size:           2
        .value_kind:     hidden_remainder_z
      - .offset:         808
        .size:           8
        .value_kind:     hidden_global_offset_x
      - .offset:         816
        .size:           8
        .value_kind:     hidden_global_offset_y
      - .offset:         824
        .size:           8
        .value_kind:     hidden_global_offset_z
      - .offset:         832
        .size:           2
        .value_kind:     hidden_grid_dims
    .group_segment_fixed_size: 32768
    .kernarg_segment_align: 8
    .kernarg_segment_size: 1024
    .language:       OpenCL C
    .language_version:
      - 2
      - 0
    .max_flat_workgroup_size: 256
    .name:           _ZN2ck16tensor_operation6device12_GLOBAL__N_137kernel_grouped_conv_fwd_dl_multiple_dINS_32GridwiseGemmDlMultipleD_km_kn_mnILi256EDF16_fNS_5TupleIJDF16_EEEDF16_NS0_12element_wise11PassThroughES8_NS7_7AddReluELNS_25InMemoryDataOperationEnumE0ENS_16TensorDescriptorINS5_IJNS_5EmbedINS5_IJiiiiiEEESD_Lb0EEENS_11PassThroughIiEENS_3PadIiiiLb0EEESI_SI_SG_SG_NSC_INS5_IJiiEEESJ_Lb0EEESK_SK_SG_NS_23Merge_v2_magic_divisionINS5_IJiiiiEEEEESN_NS_8RightPadIiiLb0EEESP_NS_7UnMergeISJ_Lb0EEESG_EEENS5_IJNS_8SequenceIJLi0EEEENST_IJLi1EEEENST_IJLi2EEEENST_IJLi3EEEENST_IJLi4EEEENST_IJLi5EEEENST_IJLi6EEEENST_IJLi7EEEENST_IJLi8EEEENST_IJLi9EEEENST_IJLi10EEEENST_IJLi11ELi13ELi15ELi17EEEENST_IJLi12ELi14ELi16ELi18EEEENST_IJLi19EEEENST_IJLi20EEEENST_IJLi22EEEENST_IJLi21EEEEEEENS5_IJNST_IJLi1ELi2ELi3ELi4ELi5EEEES10_S11_S12_S13_S14_NST_IJLi11EEEENST_IJLi12ELi13EEEENST_IJLi14ELi15EEEENST_IJLi16ELi17EEEENST_IJLi18EEEES17_S18_S1A_S19_NST_IJLi23ELi24EEEENST_IJLi25EEEEEEENST_IJLi23ELi25ELi24EEEElEENSB_INS5_IJSR_SP_SP_SR_SG_EEENS5_IJSU_SV_SW_SY_SX_EEENS5_IJNST_IJLi1ELi2EEEESX_SY_NST_IJLi5ELi6EEEES11_EEENST_IJLi5ELi7ELi6EEEElEENSB_INS5_IJSK_SP_SP_EEENS5_IJSU_SV_SW_EEENS5_IJS1P_SX_SY_EEENST_IJLi3ELi4EEEElEELi128ELi128ELi16ELi2ELi4ELi4ELi1ENST_IJLi8ELi2EEEES1Z_NST_IJLi8ELi1ELi1ELi2EEEENST_IJLi2ELi1ELi128ELi1EEEENST_IJLi1ELi2ELi0ELi3EEEES22_NST_IJLi4ELi1ELi1ELi2EEEES22_NST_IJLi1ELi1ELi1ELi2EEEES20_S21_S22_S22_S23_S22_S24_NST_IJLi0ELi1ELi2ELi3ELi4ELi5EEEELi5ELi4EEEDF16_NS5_IJPKDF16_EEEDF16_S8_S8_S9_NSB_INS5_IJSE_SG_SI_SI_SI_SG_SG_SK_SK_SK_SG_SN_SN_SP_SP_SR_SG_SG_NSQ_INS5_IJiNS_17integral_constantIiLi128EEEEEELb0EEENSF_INS2A_IiLi2EEEEEEEENS5_IJSU_SV_SW_SX_SY_SZ_S10_S11_S12_S13_S14_S15_S16_S17_S18_S19_S1A_NST_IJLi23EEEES1J_NST_IJLi24EEEEEEENS5_IJS1C_S10_S11_S12_S13_S14_S1D_S1E_S1F_S1G_S1H_S17_S18_S1A_S19_S1I_S1J_NST_IJLi26EEEENST_IJLi27ELi28EEEENST_IJLi29EEEEEEENST_IJLi26ELi27ELi28ELi29EEEElEENSB_INS5_IJSR_SP_SP_SR_SG_SG_S2D_S2F_EEENS5_IJSU_SV_SW_SY_SX_SZ_S11_S10_EEENS5_IJS1P_SX_SY_S1Q_S11_S12_NST_IJLi9ELi10EEEES1D_EEENST_IJLi8ELi9ELi10ELi11EEEElEENS5_IJNSB_INS5_IJSK_SP_SP_NSQ_INS5_IJiS2E_NS2A_IiLi64EEEEEELb0EEES2Y_EEENS5_IJSU_SV_SW_SX_SY_EEENS5_IJS1P_SX_SY_NST_IJLi5ELi6ELi7EEEENST_IJLi8ELi9ELi10EEEEEEENST_IJLi5ELi6ELi7ELi8ELi9ELi10EEEElEEEEES35_NS_31BlockToCTileMap_M00_N00_M01_N01ILi128ELi128ES1Y_Lb0EEENS1_30ComputePtrOffsetOfStridedBatchILi1ELi1ELi1EvEELb0ELb1EEEvPKT0_S3D_T1_PT2_T3_T4_T5_iT6_T7_T8_T9_T10_T11_
    .private_segment_fixed_size: 0
    .sgpr_count:     76
    .sgpr_spill_count: 0
    .symbol:         _ZN2ck16tensor_operation6device12_GLOBAL__N_137kernel_grouped_conv_fwd_dl_multiple_dINS_32GridwiseGemmDlMultipleD_km_kn_mnILi256EDF16_fNS_5TupleIJDF16_EEEDF16_NS0_12element_wise11PassThroughES8_NS7_7AddReluELNS_25InMemoryDataOperationEnumE0ENS_16TensorDescriptorINS5_IJNS_5EmbedINS5_IJiiiiiEEESD_Lb0EEENS_11PassThroughIiEENS_3PadIiiiLb0EEESI_SI_SG_SG_NSC_INS5_IJiiEEESJ_Lb0EEESK_SK_SG_NS_23Merge_v2_magic_divisionINS5_IJiiiiEEEEESN_NS_8RightPadIiiLb0EEESP_NS_7UnMergeISJ_Lb0EEESG_EEENS5_IJNS_8SequenceIJLi0EEEENST_IJLi1EEEENST_IJLi2EEEENST_IJLi3EEEENST_IJLi4EEEENST_IJLi5EEEENST_IJLi6EEEENST_IJLi7EEEENST_IJLi8EEEENST_IJLi9EEEENST_IJLi10EEEENST_IJLi11ELi13ELi15ELi17EEEENST_IJLi12ELi14ELi16ELi18EEEENST_IJLi19EEEENST_IJLi20EEEENST_IJLi22EEEENST_IJLi21EEEEEEENS5_IJNST_IJLi1ELi2ELi3ELi4ELi5EEEES10_S11_S12_S13_S14_NST_IJLi11EEEENST_IJLi12ELi13EEEENST_IJLi14ELi15EEEENST_IJLi16ELi17EEEENST_IJLi18EEEES17_S18_S1A_S19_NST_IJLi23ELi24EEEENST_IJLi25EEEEEEENST_IJLi23ELi25ELi24EEEElEENSB_INS5_IJSR_SP_SP_SR_SG_EEENS5_IJSU_SV_SW_SY_SX_EEENS5_IJNST_IJLi1ELi2EEEESX_SY_NST_IJLi5ELi6EEEES11_EEENST_IJLi5ELi7ELi6EEEElEENSB_INS5_IJSK_SP_SP_EEENS5_IJSU_SV_SW_EEENS5_IJS1P_SX_SY_EEENST_IJLi3ELi4EEEElEELi128ELi128ELi16ELi2ELi4ELi4ELi1ENST_IJLi8ELi2EEEES1Z_NST_IJLi8ELi1ELi1ELi2EEEENST_IJLi2ELi1ELi128ELi1EEEENST_IJLi1ELi2ELi0ELi3EEEES22_NST_IJLi4ELi1ELi1ELi2EEEES22_NST_IJLi1ELi1ELi1ELi2EEEES20_S21_S22_S22_S23_S22_S24_NST_IJLi0ELi1ELi2ELi3ELi4ELi5EEEELi5ELi4EEEDF16_NS5_IJPKDF16_EEEDF16_S8_S8_S9_NSB_INS5_IJSE_SG_SI_SI_SI_SG_SG_SK_SK_SK_SG_SN_SN_SP_SP_SR_SG_SG_NSQ_INS5_IJiNS_17integral_constantIiLi128EEEEEELb0EEENSF_INS2A_IiLi2EEEEEEEENS5_IJSU_SV_SW_SX_SY_SZ_S10_S11_S12_S13_S14_S15_S16_S17_S18_S19_S1A_NST_IJLi23EEEES1J_NST_IJLi24EEEEEEENS5_IJS1C_S10_S11_S12_S13_S14_S1D_S1E_S1F_S1G_S1H_S17_S18_S1A_S19_S1I_S1J_NST_IJLi26EEEENST_IJLi27ELi28EEEENST_IJLi29EEEEEEENST_IJLi26ELi27ELi28ELi29EEEElEENSB_INS5_IJSR_SP_SP_SR_SG_SG_S2D_S2F_EEENS5_IJSU_SV_SW_SY_SX_SZ_S11_S10_EEENS5_IJS1P_SX_SY_S1Q_S11_S12_NST_IJLi9ELi10EEEES1D_EEENST_IJLi8ELi9ELi10ELi11EEEElEENS5_IJNSB_INS5_IJSK_SP_SP_NSQ_INS5_IJiS2E_NS2A_IiLi64EEEEEELb0EEES2Y_EEENS5_IJSU_SV_SW_SX_SY_EEENS5_IJS1P_SX_SY_NST_IJLi5ELi6ELi7EEEENST_IJLi8ELi9ELi10EEEEEEENST_IJLi5ELi6ELi7ELi8ELi9ELi10EEEElEEEEES35_NS_31BlockToCTileMap_M00_N00_M01_N01ILi128ELi128ES1Y_Lb0EEENS1_30ComputePtrOffsetOfStridedBatchILi1ELi1ELi1EvEELb0ELb1EEEvPKT0_S3D_T1_PT2_T3_T4_T5_iT6_T7_T8_T9_T10_T11_.kd
    .uniform_work_group_size: 1
    .uses_dynamic_stack: false
    .vgpr_count:     121
    .vgpr_spill_count: 0
    .wavefront_size: 32
    .workgroup_processor_mode: 1
  - .args:
      - .actual_access:  read_only
        .address_space:  global
        .offset:         0
        .size:           8
        .value_kind:     global_buffer
      - .actual_access:  read_only
        .address_space:  global
        .offset:         8
        .size:           8
        .value_kind:     global_buffer
      - .address_space:  global
        .offset:         16
        .size:           8
        .value_kind:     global_buffer
      - .actual_access:  write_only
        .address_space:  global
        .offset:         24
        .size:           8
        .value_kind:     global_buffer
      - .offset:         32
        .size:           1
        .value_kind:     by_value
      - .offset:         33
        .size:           1
        .value_kind:     by_value
      - .offset:         34
        .size:           1
        .value_kind:     by_value
      - .offset:         36
        .size:           4
        .value_kind:     by_value
      - .offset:         40
        .size:           320
        .value_kind:     by_value
      - .offset:         360
        .size:           96
        .value_kind:     by_value
      - .offset:         456
        .size:           80
        .value_kind:     by_value
      - .offset:         536
        .size:           80
        .value_kind:     by_value
      - .offset:         616
        .size:           112
        .value_kind:     by_value
      - .offset:         728
        .size:           40
        .value_kind:     by_value
      - .offset:         768
        .size:           4
        .value_kind:     hidden_block_count_x
      - .offset:         772
        .size:           4
        .value_kind:     hidden_block_count_y
      - .offset:         776
        .size:           4
        .value_kind:     hidden_block_count_z
      - .offset:         780
        .size:           2
        .value_kind:     hidden_group_size_x
      - .offset:         782
        .size:           2
        .value_kind:     hidden_group_size_y
      - .offset:         784
        .size:           2
        .value_kind:     hidden_group_size_z
      - .offset:         786
        .size:           2
        .value_kind:     hidden_remainder_x
      - .offset:         788
        .size:           2
        .value_kind:     hidden_remainder_y
      - .offset:         790
        .size:           2
        .value_kind:     hidden_remainder_z
      - .offset:         808
        .size:           8
        .value_kind:     hidden_global_offset_x
      - .offset:         816
        .size:           8
        .value_kind:     hidden_global_offset_y
      - .offset:         824
        .size:           8
        .value_kind:     hidden_global_offset_z
      - .offset:         832
        .size:           2
        .value_kind:     hidden_grid_dims
    .group_segment_fixed_size: 32768
    .kernarg_segment_align: 8
    .kernarg_segment_size: 1024
    .language:       OpenCL C
    .language_version:
      - 2
      - 0
    .max_flat_workgroup_size: 256
    .name:           _ZN2ck16tensor_operation6device12_GLOBAL__N_137kernel_grouped_conv_fwd_dl_multiple_dINS_32GridwiseGemmDlMultipleD_km_kn_mnILi256EDF16_fNS_5TupleIJDF16_EEEDF16_NS0_12element_wise11PassThroughES8_NS7_7AddReluELNS_25InMemoryDataOperationEnumE0ENS_16TensorDescriptorINS5_IJNS_5EmbedINS5_IJiiiiiEEESD_Lb0EEENS_11PassThroughIiEENS_3PadIiiiLb0EEESI_SI_SG_SG_NSC_INS5_IJiiEEESJ_Lb0EEESK_SK_SG_NS_23Merge_v2_magic_divisionINS5_IJiiiiEEEEESN_NS_8RightPadIiiLb0EEESP_NS_7UnMergeISJ_Lb0EEESG_EEENS5_IJNS_8SequenceIJLi0EEEENST_IJLi1EEEENST_IJLi2EEEENST_IJLi3EEEENST_IJLi4EEEENST_IJLi5EEEENST_IJLi6EEEENST_IJLi7EEEENST_IJLi8EEEENST_IJLi9EEEENST_IJLi10EEEENST_IJLi11ELi13ELi15ELi17EEEENST_IJLi12ELi14ELi16ELi18EEEENST_IJLi19EEEENST_IJLi20EEEENST_IJLi22EEEENST_IJLi21EEEEEEENS5_IJNST_IJLi1ELi2ELi3ELi4ELi5EEEES10_S11_S12_S13_S14_NST_IJLi11EEEENST_IJLi12ELi13EEEENST_IJLi14ELi15EEEENST_IJLi16ELi17EEEENST_IJLi18EEEES17_S18_S1A_S19_NST_IJLi23ELi24EEEENST_IJLi25EEEEEEENST_IJLi23ELi25ELi24EEEElEENSB_INS5_IJSR_SP_SP_SR_SG_EEENS5_IJSU_SV_SW_SY_SX_EEENS5_IJNST_IJLi1ELi2EEEESX_SY_NST_IJLi5ELi6EEEES11_EEENST_IJLi5ELi7ELi6EEEElEENSB_INS5_IJSK_SP_SP_EEENS5_IJSU_SV_SW_EEENS5_IJS1P_SX_SY_EEENST_IJLi3ELi4EEEElEELi128ELi128ELi16ELi2ELi4ELi4ELi1ENST_IJLi8ELi2EEEES1Z_NST_IJLi8ELi1ELi1ELi2EEEENST_IJLi2ELi1ELi128ELi1EEEENST_IJLi1ELi2ELi0ELi3EEEES22_NST_IJLi4ELi1ELi1ELi2EEEES22_NST_IJLi1ELi1ELi1ELi2EEEES20_S21_S22_S22_S23_S22_S24_NST_IJLi0ELi1ELi2ELi3ELi4ELi5EEEELi5ELi4EEEDF16_NS5_IJPKDF16_EEEDF16_S8_S8_S9_NSB_INS5_IJSE_SG_SI_SI_SI_SG_SG_SK_SK_SK_SG_SN_SN_SP_SP_SR_SG_SG_NSQ_INS5_IJiNS_17integral_constantIiLi128EEEEEELb0EEENSF_INS2A_IiLi2EEEEEEEENS5_IJSU_SV_SW_SX_SY_SZ_S10_S11_S12_S13_S14_S15_S16_S17_S18_S19_S1A_NST_IJLi23EEEES1J_NST_IJLi24EEEEEEENS5_IJS1C_S10_S11_S12_S13_S14_S1D_S1E_S1F_S1G_S1H_S17_S18_S1A_S19_S1I_S1J_NST_IJLi26EEEENST_IJLi27ELi28EEEENST_IJLi29EEEEEEENST_IJLi26ELi27ELi28ELi29EEEElEENSB_INS5_IJSR_SP_SP_SR_SG_SG_S2D_S2F_EEENS5_IJSU_SV_SW_SY_SX_SZ_S11_S10_EEENS5_IJS1P_SX_SY_S1Q_S11_S12_NST_IJLi9ELi10EEEES1D_EEENST_IJLi8ELi9ELi10ELi11EEEElEENS5_IJNSB_INS5_IJSK_SP_SP_NSQ_INS5_IJiS2E_NS2A_IiLi64EEEEEELb0EEES2Y_EEENS5_IJSU_SV_SW_SX_SY_EEENS5_IJS1P_SX_SY_NST_IJLi5ELi6ELi7EEEENST_IJLi8ELi9ELi10EEEEEEENST_IJLi5ELi6ELi7ELi8ELi9ELi10EEEElEEEEES35_NS_31BlockToCTileMap_M00_N00_M01_N01ILi128ELi128ES1Y_Lb0EEENS1_30ComputePtrOffsetOfStridedBatchILi1ELi1ELi1EvEELb0ELb0EEEvPKT0_S3D_T1_PT2_T3_T4_T5_iT6_T7_T8_T9_T10_T11_
    .private_segment_fixed_size: 0
    .sgpr_count:     78
    .sgpr_spill_count: 0
    .symbol:         _ZN2ck16tensor_operation6device12_GLOBAL__N_137kernel_grouped_conv_fwd_dl_multiple_dINS_32GridwiseGemmDlMultipleD_km_kn_mnILi256EDF16_fNS_5TupleIJDF16_EEEDF16_NS0_12element_wise11PassThroughES8_NS7_7AddReluELNS_25InMemoryDataOperationEnumE0ENS_16TensorDescriptorINS5_IJNS_5EmbedINS5_IJiiiiiEEESD_Lb0EEENS_11PassThroughIiEENS_3PadIiiiLb0EEESI_SI_SG_SG_NSC_INS5_IJiiEEESJ_Lb0EEESK_SK_SG_NS_23Merge_v2_magic_divisionINS5_IJiiiiEEEEESN_NS_8RightPadIiiLb0EEESP_NS_7UnMergeISJ_Lb0EEESG_EEENS5_IJNS_8SequenceIJLi0EEEENST_IJLi1EEEENST_IJLi2EEEENST_IJLi3EEEENST_IJLi4EEEENST_IJLi5EEEENST_IJLi6EEEENST_IJLi7EEEENST_IJLi8EEEENST_IJLi9EEEENST_IJLi10EEEENST_IJLi11ELi13ELi15ELi17EEEENST_IJLi12ELi14ELi16ELi18EEEENST_IJLi19EEEENST_IJLi20EEEENST_IJLi22EEEENST_IJLi21EEEEEEENS5_IJNST_IJLi1ELi2ELi3ELi4ELi5EEEES10_S11_S12_S13_S14_NST_IJLi11EEEENST_IJLi12ELi13EEEENST_IJLi14ELi15EEEENST_IJLi16ELi17EEEENST_IJLi18EEEES17_S18_S1A_S19_NST_IJLi23ELi24EEEENST_IJLi25EEEEEEENST_IJLi23ELi25ELi24EEEElEENSB_INS5_IJSR_SP_SP_SR_SG_EEENS5_IJSU_SV_SW_SY_SX_EEENS5_IJNST_IJLi1ELi2EEEESX_SY_NST_IJLi5ELi6EEEES11_EEENST_IJLi5ELi7ELi6EEEElEENSB_INS5_IJSK_SP_SP_EEENS5_IJSU_SV_SW_EEENS5_IJS1P_SX_SY_EEENST_IJLi3ELi4EEEElEELi128ELi128ELi16ELi2ELi4ELi4ELi1ENST_IJLi8ELi2EEEES1Z_NST_IJLi8ELi1ELi1ELi2EEEENST_IJLi2ELi1ELi128ELi1EEEENST_IJLi1ELi2ELi0ELi3EEEES22_NST_IJLi4ELi1ELi1ELi2EEEES22_NST_IJLi1ELi1ELi1ELi2EEEES20_S21_S22_S22_S23_S22_S24_NST_IJLi0ELi1ELi2ELi3ELi4ELi5EEEELi5ELi4EEEDF16_NS5_IJPKDF16_EEEDF16_S8_S8_S9_NSB_INS5_IJSE_SG_SI_SI_SI_SG_SG_SK_SK_SK_SG_SN_SN_SP_SP_SR_SG_SG_NSQ_INS5_IJiNS_17integral_constantIiLi128EEEEEELb0EEENSF_INS2A_IiLi2EEEEEEEENS5_IJSU_SV_SW_SX_SY_SZ_S10_S11_S12_S13_S14_S15_S16_S17_S18_S19_S1A_NST_IJLi23EEEES1J_NST_IJLi24EEEEEEENS5_IJS1C_S10_S11_S12_S13_S14_S1D_S1E_S1F_S1G_S1H_S17_S18_S1A_S19_S1I_S1J_NST_IJLi26EEEENST_IJLi27ELi28EEEENST_IJLi29EEEEEEENST_IJLi26ELi27ELi28ELi29EEEElEENSB_INS5_IJSR_SP_SP_SR_SG_SG_S2D_S2F_EEENS5_IJSU_SV_SW_SY_SX_SZ_S11_S10_EEENS5_IJS1P_SX_SY_S1Q_S11_S12_NST_IJLi9ELi10EEEES1D_EEENST_IJLi8ELi9ELi10ELi11EEEElEENS5_IJNSB_INS5_IJSK_SP_SP_NSQ_INS5_IJiS2E_NS2A_IiLi64EEEEEELb0EEES2Y_EEENS5_IJSU_SV_SW_SX_SY_EEENS5_IJS1P_SX_SY_NST_IJLi5ELi6ELi7EEEENST_IJLi8ELi9ELi10EEEEEEENST_IJLi5ELi6ELi7ELi8ELi9ELi10EEEElEEEEES35_NS_31BlockToCTileMap_M00_N00_M01_N01ILi128ELi128ES1Y_Lb0EEENS1_30ComputePtrOffsetOfStridedBatchILi1ELi1ELi1EvEELb0ELb0EEEvPKT0_S3D_T1_PT2_T3_T4_T5_iT6_T7_T8_T9_T10_T11_.kd
    .uniform_work_group_size: 1
    .uses_dynamic_stack: false
    .vgpr_count:     124
    .vgpr_spill_count: 0
    .wavefront_size: 32
    .workgroup_processor_mode: 1
amdhsa.target:   amdgcn-amd-amdhsa--gfx1030
amdhsa.version:
  - 1
  - 2
...

	.end_amdgpu_metadata
